;; amdgpu-corpus repo=ROCm/rocFFT kind=compiled arch=gfx950 opt=O3
	.text
	.amdgcn_target "amdgcn-amd-amdhsa--gfx950"
	.amdhsa_code_object_version 6
	.protected	bluestein_single_fwd_len2700_dim1_sp_op_CI_CI ; -- Begin function bluestein_single_fwd_len2700_dim1_sp_op_CI_CI
	.globl	bluestein_single_fwd_len2700_dim1_sp_op_CI_CI
	.p2align	8
	.type	bluestein_single_fwd_len2700_dim1_sp_op_CI_CI,@function
bluestein_single_fwd_len2700_dim1_sp_op_CI_CI: ; @bluestein_single_fwd_len2700_dim1_sp_op_CI_CI
; %bb.0:
	s_load_dwordx4 s[4:7], s[0:1], 0x28
	v_mul_u32_u24_e32 v1, 0x2d9, v0
	v_add_u32_sdwa v196, s2, v1 dst_sel:DWORD dst_unused:UNUSED_PAD src0_sel:DWORD src1_sel:WORD_1
	v_mov_b32_e32 v197, 0
	s_waitcnt lgkmcnt(0)
	v_cmp_gt_u64_e32 vcc, s[4:5], v[196:197]
	s_and_saveexec_b64 s[2:3], vcc
	s_cbranch_execz .LBB0_2
; %bb.1:
	s_load_dwordx4 s[12:15], s[0:1], 0x18
	s_load_dwordx4 s[8:11], s[0:1], 0x0
	v_mov_b32_e32 v2, s6
	v_mov_b32_e32 v3, s7
	s_movk_i32 s2, 0x5a
	s_waitcnt lgkmcnt(0)
	s_load_dwordx4 s[4:7], s[14:15], 0x0
	v_mul_lo_u16_sdwa v1, v1, s2 dst_sel:DWORD dst_unused:UNUSED_PAD src0_sel:WORD_1 src1_sel:DWORD
	s_load_dwordx4 s[12:15], s[12:13], 0x0
	v_sub_u16_e32 v184, v0, v1
	v_mov_b32_e32 v34, 0x1c20
	s_waitcnt lgkmcnt(0)
	v_mad_u64_u32 v[4:5], s[2:3], s6, v196, 0
	v_mov_b32_e32 v0, v5
	v_mad_u64_u32 v[0:1], s[2:3], s7, v196, v[0:1]
	v_accvgpr_write_b32 a2, v0
	v_mad_u64_u32 v[0:1], s[2:3], s14, v196, 0
	v_accvgpr_write_b32 a0, v4
	v_mov_b32_e32 v4, v1
	v_mad_u64_u32 v[4:5], s[2:3], s15, v196, v[4:5]
	v_mov_b32_e32 v1, v4
	v_mad_u64_u32 v[4:5], s[2:3], s12, v184, 0
	;; [unrolled: 2-line block ×3, first 2 shown]
	v_mov_b32_e32 v5, v6
	v_lshl_add_u64 v[0:1], v[0:1], 3, v[2:3]
	v_lshl_add_u64 v[0:1], v[4:5], 3, v[0:1]
	v_mad_u64_u32 v[6:7], s[2:3], s12, v34, v[0:1]
	v_lshlrev_b32_e32 v196, 3, v184
	s_mul_i32 s2, s13, 0x1c20
	v_lshl_add_u64 v[244:245], s[8:9], 0, v[196:197]
	v_add_u32_e32 v7, s2, v7
	s_movk_i32 s3, 0x1000
	global_load_dwordx2 v[36:37], v[0:1], off
	v_add_co_u32_e32 v0, vcc, s3, v244
	v_mad_u64_u32 v[12:13], s[6:7], s12, v34, v[6:7]
	s_nop 0
	v_addc_co_u32_e32 v1, vcc, 0, v245, vcc
	v_add_u32_e32 v13, s2, v13
	s_movk_i32 s6, 0x3000
	v_mov_b32_e32 v4, 0xffffca90
	v_add_co_u32_e32 v2, vcc, s6, v244
	v_mad_u64_u32 v[14:15], s[6:7], s12, v4, v[12:13]
	s_mul_i32 s6, s13, 0xffffca90
	s_sub_i32 s6, s6, s12
	v_add_u32_e32 v15, s6, v15
	global_load_dwordx2 v[40:41], v196, s[8:9]
	v_mad_u64_u32 v[16:17], s[14:15], s12, v34, v[14:15]
	v_addc_co_u32_e32 v3, vcc, 0, v245, vcc
	v_add_u32_e32 v17, s2, v17
	global_load_dwordx2 v[68:69], v[0:1], off offset:3104
	global_load_dwordx2 v[62:63], v[2:3], off offset:2112
	global_load_dwordx2 v[66:67], v196, s[8:9] offset:720
	global_load_dwordx2 v[4:5], v[6:7], off
	global_load_dwordx2 v[10:11], v[12:13], off
	global_load_dwordx2 v[8:9], v[14:15], off
	s_nop 0
	global_load_dwordx2 v[6:7], v[16:17], off
	global_load_dwordx2 v[64:65], v[0:1], off offset:3824
	v_mad_u64_u32 v[12:13], s[14:15], s12, v34, v[16:17]
	v_mov_b32_e32 v32, 0xffffca90
	v_add_u32_e32 v13, s2, v13
	global_load_dwordx2 v[14:15], v[12:13], off
	global_load_dwordx2 v[60:61], v[2:3], off offset:2832
	v_mad_u64_u32 v[12:13], s[14:15], s12, v32, v[12:13]
	v_add_u32_e32 v13, s6, v13
	s_movk_i32 s7, 0x2000
	global_load_dwordx2 v[18:19], v[12:13], off
	global_load_dwordx2 v[58:59], v196, s[8:9] offset:1440
	v_mad_u64_u32 v[16:17], s[14:15], s12, v34, v[12:13]
	v_add_co_u32_e32 v12, vcc, s7, v244
	v_add_u32_e32 v17, s2, v17
	s_nop 0
	v_addc_co_u32_e32 v13, vcc, 0, v245, vcc
	global_load_dwordx2 v[20:21], v[16:17], off
	global_load_dwordx2 v[56:57], v[12:13], off offset:448
	v_mad_u64_u32 v[16:17], s[14:15], s12, v34, v[16:17]
	v_add_u32_e32 v17, s2, v17
	global_load_dwordx2 v[22:23], v[16:17], off
	global_load_dwordx2 v[54:55], v[2:3], off offset:3552
	v_mad_u64_u32 v[16:17], s[14:15], s12, v32, v[16:17]
	v_add_u32_e32 v17, s6, v17
	global_load_dwordx2 v[24:25], v[16:17], off
	global_load_dwordx2 v[52:53], v196, s[8:9] offset:2160
	v_mad_u64_u32 v[16:17], s[14:15], s12, v34, v[16:17]
	v_add_u32_e32 v17, s2, v17
	v_mad_u64_u32 v[30:31], s[14:15], s12, v34, v[16:17]
	v_add_u32_e32 v31, s2, v31
	global_load_dwordx2 v[26:27], v[16:17], off
	global_load_dwordx2 v[48:49], v[12:13], off offset:1168
	global_load_dwordx2 v[28:29], v[30:31], off
	v_mad_u64_u32 v[30:31], s[14:15], s12, v32, v[30:31]
	s_movk_i32 s7, 0x4000
	v_add_u32_e32 v31, s6, v31
	v_add_co_u32_e32 v16, vcc, s7, v244
	v_mad_u64_u32 v[34:35], s[14:15], s12, v34, v[30:31]
	s_nop 0
	v_addc_co_u32_e32 v17, vcc, 0, v245, vcc
	v_add_u32_e32 v35, s2, v35
	global_load_dwordx2 v[50:51], v[16:17], off offset:176
	global_load_dwordx2 v[32:33], v[30:31], off
	global_load_dwordx2 v[46:47], v196, s[8:9] offset:2880
	s_nop 0
	global_load_dwordx2 v[30:31], v[34:35], off
	global_load_dwordx2 v[44:45], v[12:13], off offset:1888
	v_add_u32_e32 v73, 0x2000, v196
	v_add_u32_e32 v212, 0x168, v184
	;; [unrolled: 1-line block ×3, first 2 shown]
	s_movk_i32 s13, 0x48
	v_mov_b32_e32 v205, v73
	s_mov_b32 s14, 0x3f4f1bbd
	s_mov_b32 s16, 0xbf737871
	v_accvgpr_write_b32 a64, v184
	s_load_dwordx2 s[0:1], s[0:1], 0x38
	s_waitcnt vmcnt(26)
	v_mul_f32_e32 v38, v37, v41
	v_fmac_f32_e32 v38, v36, v40
	v_mul_f32_e32 v36, v36, v41
	v_accvgpr_write_b32 a26, v40
	v_fma_f32 v39, v37, v40, -v36
	v_accvgpr_write_b32 a27, v41
	global_load_dwordx2 v[42:43], v[2:3], off offset:672
	global_load_dwordx2 v[40:41], v[2:3], off offset:1392
	s_waitcnt vmcnt(27)
	v_accvgpr_write_b32 a62, v68
	s_waitcnt vmcnt(24)
	v_mul_f32_e32 v2, v5, v69
	v_mul_f32_e32 v3, v4, v69
	v_fmac_f32_e32 v2, v4, v68
	v_fma_f32 v3, v5, v68, -v3
	ds_write_b64 v196, v[2:3] offset:7200
	s_waitcnt vmcnt(23)
	v_mul_f32_e32 v2, v11, v63
	v_mul_f32_e32 v3, v10, v63
	v_fmac_f32_e32 v2, v10, v62
	v_fma_f32 v3, v11, v62, -v3
	ds_write_b64 v196, v[2:3] offset:14400
	s_waitcnt vmcnt(22)
	v_mul_f32_e32 v2, v9, v67
	v_mul_f32_e32 v3, v8, v67
	v_fmac_f32_e32 v2, v8, v66
	v_fma_f32 v3, v9, v66, -v3
	ds_write2_b64 v196, v[38:39], v[2:3] offset1:90
	s_waitcnt vmcnt(20)
	v_mul_f32_e32 v2, v7, v65
	v_mul_f32_e32 v3, v6, v65
	v_fmac_f32_e32 v2, v6, v64
	v_fma_f32 v3, v7, v64, -v3
	v_add_u32_e32 v10, 0x1c00, v196
	s_waitcnt vmcnt(14)
	v_mul_f32_e32 v8, v21, v57
	v_mul_f32_e32 v9, v20, v57
	v_fmac_f32_e32 v8, v20, v56
	v_fma_f32 v9, v21, v56, -v9
	v_mul_f32_e32 v4, v15, v61
	v_mul_f32_e32 v5, v14, v61
	ds_write2_b64 v10, v[2:3], v[8:9] offset0:94 offset1:184
	s_waitcnt vmcnt(12)
	v_mul_f32_e32 v2, v23, v55
	v_mul_f32_e32 v3, v22, v55
	v_fmac_f32_e32 v4, v14, v60
	v_fma_f32 v5, v15, v60, -v5
	v_fmac_f32_e32 v2, v22, v54
	v_fma_f32 v3, v23, v54, -v3
	v_add_u32_e32 v8, 0x3800, v196
	v_mul_f32_e32 v6, v19, v59
	v_mul_f32_e32 v7, v18, v59
	ds_write2_b64 v8, v[4:5], v[2:3] offset0:98 offset1:188
	s_waitcnt vmcnt(10)
	v_mul_f32_e32 v2, v25, v53
	v_mul_f32_e32 v3, v24, v53
	v_fmac_f32_e32 v6, v18, v58
	v_fma_f32 v7, v19, v58, -v7
	v_fmac_f32_e32 v2, v24, v52
	v_fma_f32 v3, v25, v52, -v3
	v_add_u32_e32 v4, 0x400, v196
	v_accvgpr_write_b32 a60, v62
	v_accvgpr_write_b32 a58, v66
	;; [unrolled: 1-line block ×4, first 2 shown]
	ds_write2_b64 v4, v[6:7], v[2:3] offset0:52 offset1:142
	v_mov_b32_e32 v38, 0x1c20
	v_accvgpr_write_b32 a63, v69
	v_accvgpr_write_b32 a61, v63
	;; [unrolled: 1-line block ×4, first 2 shown]
	v_mov_b32_e32 v204, v8
	v_accvgpr_write_b32 a47, v53
	global_load_dwordx2 v[66:67], v[12:13], off offset:2608
	global_load_dwordx2 v[56:57], v[12:13], off offset:3328
	;; [unrolled: 1-line block ×5, first 2 shown]
	global_load_dwordx2 v[68:69], v196, s[8:9] offset:3600
	v_mad_u64_u32 v[8:9], s[8:9], s12, v38, v[34:35]
	v_add_u32_e32 v9, s2, v9
	v_mov_b32_e32 v22, 0xffffca90
	v_mov_b32_e32 v203, v10
	global_load_dwordx2 v[10:11], v[8:9], off
	v_mad_u64_u32 v[8:9], s[8:9], s12, v22, v[8:9]
	v_add_u32_e32 v9, s6, v9
	global_load_dwordx2 v[14:15], v[8:9], off
	v_mad_u64_u32 v[8:9], s[8:9], s12, v38, v[8:9]
	v_add_u32_e32 v9, s2, v9
	;; [unrolled: 3-line block ×3, first 2 shown]
	global_load_dwordx2 v[20:21], v[8:9], off
	v_mad_u64_u32 v[8:9], s[8:9], s12, v22, v[8:9]
	v_accvgpr_write_b32 a56, v64
	v_add_u32_e32 v9, s6, v9
	v_accvgpr_write_b32 a57, v65
	global_load_dwordx2 v[22:23], v[8:9], off
	global_load_dwordx2 v[64:65], v[0:1], off offset:224
	v_mad_u64_u32 v[8:9], s[8:9], s12, v38, v[8:9]
	s_waitcnt vmcnt(20)
	v_mul_f32_e32 v2, v27, v49
	v_mul_f32_e32 v3, v26, v49
	v_add_u32_e32 v9, s2, v9
	v_fmac_f32_e32 v2, v26, v48
	v_fma_f32 v3, v27, v48, -v3
	s_waitcnt vmcnt(14)
	v_mov_b64_e32 v[26:27], v[44:45]
	global_load_dwordx2 v[24:25], v[8:9], off
	v_mad_u64_u32 v[8:9], s[8:9], s12, v38, v[8:9]
	v_accvgpr_write_b32 a54, v60
	v_mul_f32_e32 v12, v31, v45
	v_mul_f32_e32 v13, v30, v45
	v_mov_b32_e32 v45, 0xffffca90
	v_accvgpr_write_b32 a31, v27
	v_add_u32_e32 v9, s2, v9
	v_accvgpr_write_b32 a55, v61
	v_fma_f32 v13, v31, v26, -v13
	v_accvgpr_write_b32 a30, v26
	global_load_dwordx2 v[26:27], v[8:9], off
	global_load_dwordx2 v[60:61], v[16:17], off offset:2336
	v_mad_u64_u32 v[8:9], s[8:9], s12, v45, v[8:9]
	v_accvgpr_write_b32 a52, v58
	v_mov_b32_e32 v72, v4
	v_mul_f32_e32 v4, v29, v51
	v_mul_f32_e32 v5, v28, v51
	v_add_u32_e32 v9, s6, v9
	v_accvgpr_write_b32 a53, v59
	v_fmac_f32_e32 v4, v28, v50
	v_fma_f32 v5, v29, v50, -v5
	global_load_dwordx2 v[28:29], v[8:9], off
	global_load_dwordx2 v[58:59], v[0:1], off offset:944
	v_mad_u64_u32 v[8:9], s[8:9], s12, v38, v[8:9]
	v_add_u32_e32 v9, s2, v9
	v_fmac_f32_e32 v12, v30, v44
	global_load_dwordx2 v[30:31], v[8:9], off
	v_mad_u64_u32 v[8:9], s[8:9], s12, v38, v[8:9]
	v_accvgpr_write_b32 a48, v54
	v_mul_f32_e32 v6, v33, v47
	v_mul_f32_e32 v7, v32, v47
	v_add_u32_e32 v9, s2, v9
	v_accvgpr_write_b32 a49, v55
	v_fmac_f32_e32 v6, v32, v46
	v_fma_f32 v7, v33, v46, -v7
	global_load_dwordx2 v[32:33], v[8:9], off
	global_load_dwordx2 v[54:55], v[16:17], off offset:3056
	v_mad_u64_u32 v[8:9], s[8:9], s12, v45, v[8:9]
	v_accvgpr_write_b32 a38, v50
	v_add_u32_e32 v9, s6, v9
	v_accvgpr_write_b32 a39, v51
	global_load_dwordx2 v[34:35], v[8:9], off
	global_load_dwordx2 v[50:51], v[0:1], off offset:1664
	v_mad_u64_u32 v[8:9], s[8:9], s12, v38, v[8:9]
	v_add_u32_e32 v9, s2, v9
	global_load_dwordx2 v[36:37], v[8:9], off
	v_mad_u64_u32 v[8:9], s[8:9], s12, v38, v[8:9]
	v_accvgpr_write_b32 a42, v48
	v_add_u32_e32 v9, s2, v9
	v_accvgpr_write_b32 a43, v49
	global_load_dwordx2 v[38:39], v[8:9], off
	global_load_dwordx2 v[48:49], v[16:17], off offset:3776
	v_mad_u64_u32 v[8:9], s[8:9], s12, v45, v[8:9]
	v_accvgpr_write_b32 a34, v46
	v_mov_b32_e32 v44, 0x1c20
	v_add_u32_e32 v9, s6, v9
	v_accvgpr_write_b32 a35, v47
	global_load_dwordx2 v[16:17], v[8:9], off
	global_load_dwordx2 v[46:47], v[0:1], off offset:2384
	v_mad_u64_u32 v[0:1], s[6:7], s12, v44, v[8:9]
	v_add_u32_e32 v1, s2, v1
	global_load_dwordx2 v[8:9], v[0:1], off
	v_mad_u64_u32 v[0:1], s[6:7], s12, v44, v[0:1]
	v_add_u32_e32 v1, s2, v1
	s_movk_i32 s2, 0x5000
	v_add_co_u32_e32 v74, vcc, s2, v244
	global_load_dwordx2 v[0:1], v[0:1], off
	s_nop 0
	v_addc_co_u32_e32 v75, vcc, 0, v245, vcc
	global_load_dwordx2 v[44:45], v[74:75], off offset:400
	ds_write2_b64 v73, v[2:3], v[12:13] offset0:146 offset1:236
	s_waitcnt vmcnt(23)
	v_mul_f32_e32 v2, v11, v71
	v_mul_f32_e32 v3, v10, v71
	v_fmac_f32_e32 v2, v10, v70
	v_fma_f32 v3, v11, v70, -v3
	v_add_u32_e32 v10, 0x4000, v196
	ds_write2_b64 v10, v[4:5], v[2:3] offset0:22 offset1:112
	s_waitcnt vmcnt(22)
	v_mul_f32_e32 v2, v15, v69
	v_mul_f32_e32 v3, v14, v69
	v_fmac_f32_e32 v2, v14, v68
	v_fma_f32 v3, v15, v68, -v3
	v_add_u32_e32 v4, 0x800, v196
	v_mov_b32_e32 v13, v10
	ds_write2_b64 v4, v[6:7], v[2:3] offset0:104 offset1:194
	s_waitcnt vmcnt(21)
	v_mul_f32_e32 v2, v19, v67
	v_mul_f32_e32 v3, v18, v67
	s_waitcnt vmcnt(17)
	v_mul_f32_e32 v10, v25, v57
	v_mul_f32_e32 v11, v24, v57
	v_fmac_f32_e32 v2, v18, v66
	v_fma_f32 v3, v19, v66, -v3
	v_fmac_f32_e32 v10, v24, v56
	v_fma_f32 v11, v25, v56, -v11
	v_add_u32_e32 v12, 0x2800, v196
	v_mov_b32_e32 v202, v4
	v_mul_f32_e32 v4, v21, v63
	v_mul_f32_e32 v5, v20, v63
	ds_write2_b64 v12, v[2:3], v[10:11] offset0:70 offset1:160
	s_waitcnt vmcnt(15)
	v_mul_f32_e32 v2, v27, v61
	v_mul_f32_e32 v3, v26, v61
	v_fmac_f32_e32 v4, v20, v62
	v_fma_f32 v5, v21, v62, -v5
	v_fmac_f32_e32 v2, v26, v60
	v_fma_f32 v3, v27, v60, -v3
	v_add_u32_e32 v10, 0x4400, v196
	v_mul_f32_e32 v6, v23, v65
	v_mul_f32_e32 v7, v22, v65
	ds_write2_b64 v10, v[4:5], v[2:3] offset0:74 offset1:164
	s_waitcnt vmcnt(13)
	v_mul_f32_e32 v2, v29, v59
	v_mul_f32_e32 v3, v28, v59
	v_fmac_f32_e32 v6, v22, v64
	v_fma_f32 v7, v23, v64, -v7
	v_fmac_f32_e32 v2, v28, v58
	v_fma_f32 v3, v29, v58, -v3
	v_add_u32_e32 v4, 0x1000, v196
	v_accvgpr_write_b32 a1, v10
	ds_write2_b64 v4, v[6:7], v[2:3] offset0:28 offset1:118
	s_waitcnt vmcnt(12)
	v_mul_f32_e32 v2, v31, v53
	v_mul_f32_e32 v3, v30, v53
	v_mov_b32_e32 v190, v12
	v_fmac_f32_e32 v2, v30, v52
	v_fma_f32 v3, v31, v52, -v3
	v_add_u32_e32 v12, 0x2c00, v196
	s_waitcnt vmcnt(7)
	v_mul_f32_e32 v10, v37, v43
	v_mul_f32_e32 v11, v36, v43
	v_fmac_f32_e32 v10, v36, v42
	v_fma_f32 v11, v37, v42, -v11
	v_mov_b32_e32 v189, v4
	v_mul_f32_e32 v4, v33, v55
	v_mul_f32_e32 v5, v32, v55
	ds_write2_b64 v12, v[2:3], v[10:11] offset0:122 offset1:212
	s_waitcnt vmcnt(5)
	v_mul_f32_e32 v2, v39, v49
	v_mul_f32_e32 v3, v38, v49
	v_fmac_f32_e32 v4, v32, v54
	v_fma_f32 v5, v33, v54, -v5
	v_fmac_f32_e32 v2, v38, v48
	v_fma_f32 v3, v39, v48, -v3
	v_add_u32_e32 v10, 0x4800, v196
	v_mul_f32_e32 v6, v35, v51
	v_mul_f32_e32 v7, v34, v51
	ds_write2_b64 v10, v[4:5], v[2:3] offset0:126 offset1:216
	s_waitcnt vmcnt(3)
	v_mul_f32_e32 v2, v17, v47
	v_mul_f32_e32 v3, v16, v47
	v_fmac_f32_e32 v6, v34, v50
	v_fma_f32 v7, v35, v50, -v7
	v_fmac_f32_e32 v2, v16, v46
	v_fma_f32 v3, v17, v46, -v3
	v_add_u32_e32 v4, 0x1400, v196
	ds_write2_b64 v4, v[6:7], v[2:3] offset0:80 offset1:170
	s_waitcnt vmcnt(2)
	v_mul_f32_e32 v2, v9, v41
	v_mul_f32_e32 v3, v8, v41
	v_fmac_f32_e32 v2, v8, v40
	v_fma_f32 v3, v9, v40, -v3
	ds_write_b64 v196, v[2:3] offset:13680
	s_waitcnt vmcnt(0)
	v_mul_f32_e32 v2, v1, v45
	v_fmac_f32_e32 v2, v0, v44
	v_mul_f32_e32 v0, v0, v45
	v_mov_b32_e32 v188, v4
	v_fma_f32 v3, v1, v44, -v0
	v_add_u32_e32 v4, 0x3c00, v196
	ds_write_b64 v196, v[2:3] offset:20880
	s_waitcnt lgkmcnt(0)
	s_barrier
	ds_read2_b64 v[6:9], v73 offset0:56 offset1:146
	ds_read2_b64 v[14:17], v4 offset0:60 offset1:150
	;; [unrolled: 1-line block ×3, first 2 shown]
	v_mov_b32_e32 v191, v10
	v_mov_b32_e32 v207, v4
	ds_read2_b64 v[24:27], v202 offset0:104 offset1:194
	s_waitcnt lgkmcnt(2)
	v_pk_add_f32 v[10:11], v[6:7], v[14:15]
	s_waitcnt lgkmcnt(1)
	v_pk_add_f32 v[4:5], v[0:1], v[6:7]
	v_pk_fma_f32 v[10:11], v[10:11], 0.5, v[0:1] op_sel_hi:[1,0,1] neg_lo:[1,0,0] neg_hi:[1,0,0]
	v_pk_add_f32 v[0:1], v[2:3], v[8:9]
	v_pk_add_f32 v[4:5], v[4:5], v[14:15]
	v_pk_add_f32 v[14:15], v[6:7], v[14:15] neg_lo:[0,1] neg_hi:[0,1]
	v_pk_add_f32 v[6:7], v[0:1], v[16:17]
	v_add_u32_e32 v0, 0x2400, v196
	ds_read2_b64 v[28:31], v0 offset0:108 offset1:198
	ds_read2_b64 v[32:35], v13 offset0:112 offset1:202
	v_mov_b32_e32 v194, v0
	v_pk_add_f32 v[0:1], v[8:9], v[16:17]
	v_pk_add_f32 v[22:23], v[8:9], v[16:17] neg_lo:[0,1] neg_hi:[0,1]
	v_pk_fma_f32 v[20:21], v[0:1], 0.5, v[2:3] op_sel_hi:[1,0,1] neg_lo:[1,0,0] neg_hi:[1,0,0]
	s_waitcnt lgkmcnt(1)
	v_pk_add_f32 v[0:1], v[24:25], v[28:29]
	v_accvgpr_write_b32 a12, v42
	s_waitcnt lgkmcnt(0)
	v_pk_add_f32 v[8:9], v[0:1], v[32:33]
	v_pk_add_f32 v[0:1], v[28:29], v[32:33]
	v_accvgpr_write_b32 a6, v40
	v_pk_fma_f32 v[16:17], v[0:1], 0.5, v[24:25] op_sel_hi:[1,0,1] neg_lo:[1,0,0] neg_hi:[1,0,0]
	v_pk_add_f32 v[0:1], v[26:27], v[30:31]
	v_accvgpr_write_b32 a13, v43
	v_accvgpr_write_b32 a3, v12
	;; [unrolled: 1-line block ×3, first 2 shown]
	v_mov_b32_e32 v206, v13
	v_pk_add_f32 v[12:13], v[0:1], v[34:35]
	ds_read2_b64 v[36:39], v189 offset0:28 offset1:118
	ds_read2_b64 v[0:3], v190 offset0:160 offset1:250
	;; [unrolled: 1-line block ×3, first 2 shown]
	v_accvgpr_write_b32 a4, v44
	v_pk_add_f32 v[24:25], v[30:31], v[34:35]
	v_accvgpr_write_b32 a16, v54
	v_accvgpr_write_b32 a10, v48
	;; [unrolled: 1-line block ×3, first 2 shown]
	v_pk_fma_f32 v[44:45], v[24:25], 0.5, v[26:27] op_sel_hi:[1,0,1] neg_lo:[1,0,0] neg_hi:[1,0,0]
	s_waitcnt lgkmcnt(1)
	v_pk_add_f32 v[24:25], v[36:37], v[0:1]
	v_accvgpr_write_b32 a18, v52
	v_accvgpr_write_b32 a17, v55
	;; [unrolled: 1-line block ×5, first 2 shown]
	v_pk_add_f32 v[18:19], v[28:29], v[32:33] neg_lo:[0,1] neg_hi:[0,1]
	s_waitcnt lgkmcnt(0)
	v_pk_add_f32 v[32:33], v[0:1], v[40:41]
	v_pk_add_f32 v[48:49], v[0:1], v[40:41] neg_lo:[0,1] neg_hi:[0,1]
	v_pk_add_f32 v[54:55], v[24:25], v[40:41]
	v_add_u32_e32 v28, 0x3000, v196
	v_add_u32_e32 v40, 0x4c00, v196
	v_accvgpr_write_b32 a32, v62
	v_accvgpr_write_b32 a22, v60
	;; [unrolled: 1-line block ×5, first 2 shown]
	v_pk_add_f32 v[46:47], v[30:31], v[34:35] neg_lo:[0,1] neg_hi:[0,1]
	v_pk_add_f32 v[34:35], v[38:39], v[2:3]
	v_pk_add_f32 v[50:51], v[2:3], v[42:43]
	v_pk_add_f32 v[52:53], v[2:3], v[42:43] neg_lo:[0,1] neg_hi:[0,1]
	ds_read2_b64 v[0:3], v188 offset0:80 offset1:170
	ds_read2_b64 v[24:27], v28 offset0:84 offset1:174
	v_mov_b32_e32 v195, v28
	ds_read2_b64 v[28:31], v40 offset0:88 offset1:178
	v_mov_b32_e32 v186, v40
	v_add_u32_e32 v40, 0x1800, v196
	v_accvgpr_write_b32 a33, v63
	v_accvgpr_write_b32 a23, v61
	v_pk_add_f32 v[60:61], v[34:35], v[42:43]
	v_pk_fma_f32 v[62:63], v[32:33], 0.5, v[36:37] op_sel_hi:[1,0,1] neg_lo:[1,0,0] neg_hi:[1,0,0]
	v_pk_fma_f32 v[50:51], v[50:51], 0.5, v[38:39] op_sel_hi:[1,0,1] neg_lo:[1,0,0] neg_hi:[1,0,0]
	ds_read2_b64 v[32:35], v196 offset1:90
	ds_read2_b64 v[36:39], v40 offset0:132 offset1:222
	v_mov_b32_e32 v211, v40
	ds_read2_b64 v[40:43], v204 offset0:8 offset1:98
	v_accvgpr_write_b32 a44, v70
	v_accvgpr_write_b32 a40, v68
	;; [unrolled: 1-line block ×8, first 2 shown]
	s_waitcnt lgkmcnt(4)
	v_pk_add_f32 v[56:57], v[0:1], v[24:25]
	s_waitcnt lgkmcnt(1)
	v_pk_add_f32 v[68:69], v[32:33], v[36:37]
	;; [unrolled: 2-line block ×3, first 2 shown]
	v_pk_add_f32 v[36:37], v[36:37], v[40:41] neg_lo:[0,1] neg_hi:[0,1]
	s_mov_b32 s2, 0x3f5db3d7
	v_accvgpr_write_b32 a36, v66
	v_accvgpr_write_b32 a29, v65
	;; [unrolled: 1-line block ×3, first 2 shown]
	v_pk_add_f32 v[64:65], v[24:25], v[28:29]
	v_pk_add_f32 v[24:25], v[24:25], v[28:29] neg_lo:[0,1] neg_hi:[0,1]
	v_pk_add_f32 v[58:59], v[2:3], v[26:27]
	v_pk_add_f32 v[28:29], v[56:57], v[28:29]
	;; [unrolled: 1-line block ×3, first 2 shown]
	v_pk_fma_f32 v[32:33], v[70:71], 0.5, v[32:33] op_sel_hi:[1,0,1] neg_lo:[1,0,0] neg_hi:[1,0,0]
	v_pk_mul_f32 v[36:37], v[36:37], s[2:3] op_sel_hi:[1,0]
	v_accvgpr_write_b32 a37, v67
	v_pk_add_f32 v[66:67], v[26:27], v[30:31]
	v_pk_add_f32 v[26:27], v[26:27], v[30:31] neg_lo:[0,1] neg_hi:[0,1]
	v_pk_add_f32 v[30:31], v[58:59], v[30:31]
	v_pk_add_f32 v[58:59], v[38:39], v[42:43]
	v_pk_add_f32 v[38:39], v[38:39], v[42:43] neg_lo:[0,1] neg_hi:[0,1]
	v_pk_add_f32 v[42:43], v[56:57], v[42:43]
	v_pk_add_f32 v[56:57], v[32:33], v[36:37] op_sel:[0,1] op_sel_hi:[1,0]
	v_pk_add_f32 v[32:33], v[32:33], v[36:37] op_sel:[0,1] op_sel_hi:[1,0] neg_lo:[0,1] neg_hi:[0,1]
	v_mul_lo_u16_e32 v36, 3, v184
	s_mov_b32 s6, 0
	v_pk_add_f32 v[40:41], v[68:69], v[40:41]
	v_pk_fma_f32 v[34:35], v[58:59], 0.5, v[34:35] op_sel_hi:[1,0,1] neg_lo:[1,0,0] neg_hi:[1,0,0]
	v_lshlrev_b32_e32 v58, 3, v36
	v_mov_b32_e32 v36, v56
	v_mov_b32_e32 v37, v33
	;; [unrolled: 1-line block ×3, first 2 shown]
	s_mov_b64 s[6:7], 0x5a
	s_barrier
	ds_write2_b64 v58, v[40:41], v[36:37] offset1:1
	v_pk_mul_f32 v[36:37], v[38:39], s[2:3] op_sel_hi:[1,0]
	v_mov_b32_e32 v33, v57
	v_lshl_add_u64 v[56:57], v[184:185], 0, s[6:7]
	v_pk_add_f32 v[38:39], v[34:35], v[36:37] op_sel:[0,1] op_sel_hi:[1,0]
	v_pk_add_f32 v[34:35], v[34:35], v[36:37] op_sel:[0,1] op_sel_hi:[1,0] neg_lo:[0,1] neg_hi:[0,1]
	ds_write_b64 v58, v[32:33] offset:16
	v_mul_u32_u24_e32 v32, 3, v56
	s_mov_b64 s[6:7], 0xb4
	v_accvgpr_write_b32 a65, v58
	v_lshlrev_b32_e32 v36, 3, v32
	v_mov_b32_e32 v32, v38
	v_mov_b32_e32 v33, v35
	v_pk_mul_f32 v[14:15], v[14:15], s[2:3] op_sel_hi:[1,0]
	v_lshl_add_u64 v[58:59], v[184:185], 0, s[6:7]
	ds_write2_b64 v36, v[42:43], v[32:33] offset1:1
	v_pk_add_f32 v[32:33], v[10:11], v[14:15] op_sel:[0,1] op_sel_hi:[1,0]
	v_pk_add_f32 v[10:11], v[10:11], v[14:15] op_sel:[0,1] op_sel_hi:[1,0] neg_lo:[0,1] neg_hi:[0,1]
	v_mov_b32_e32 v35, v39
	v_mul_u32_u24_e32 v14, 3, v58
	ds_write_b64 v36, v[34:35] offset:16
	v_lshlrev_b32_e32 v34, 3, v14
	v_mov_b32_e32 v14, v32
	v_mov_b32_e32 v15, v11
	s_mov_b64 s[6:7], 0x10e
	ds_write2_b64 v34, v[4:5], v[14:15] offset1:1
	v_pk_mul_f32 v[4:5], v[22:23], s[2:3] op_sel_hi:[1,0]
	v_mov_b32_e32 v11, v33
	v_lshl_add_u64 v[152:153], v[184:185], 0, s[6:7]
	v_pk_add_f32 v[14:15], v[20:21], v[4:5] op_sel:[0,1] op_sel_hi:[1,0]
	v_pk_add_f32 v[4:5], v[20:21], v[4:5] op_sel:[0,1] op_sel_hi:[1,0] neg_lo:[0,1] neg_hi:[0,1]
	ds_write_b64 v34, v[10:11] offset:16
	v_mul_u32_u24_e32 v10, 3, v152
	v_lshlrev_b32_e32 v20, 3, v10
	v_mov_b32_e32 v10, v14
	v_mov_b32_e32 v11, v5
	ds_write2_b64 v20, v[6:7], v[10:11] offset1:1
	v_pk_mul_f32 v[6:7], v[18:19], s[2:3] op_sel_hi:[1,0]
	v_mov_b32_e32 v5, v15
	v_pk_add_f32 v[10:11], v[16:17], v[6:7] op_sel:[0,1] op_sel_hi:[1,0]
	v_pk_add_f32 v[6:7], v[16:17], v[6:7] op_sel:[0,1] op_sel_hi:[1,0] neg_lo:[0,1] neg_hi:[0,1]
	ds_write_b64 v20, v[4:5] offset:16
	v_mul_u32_u24_e32 v4, 3, v212
	v_lshlrev_b32_e32 v14, 3, v4
	v_mov_b32_e32 v4, v10
	v_mov_b32_e32 v5, v7
	ds_write2_b64 v14, v[8:9], v[4:5] offset1:1
	v_pk_mul_f32 v[4:5], v[46:47], s[2:3] op_sel_hi:[1,0]
	v_mov_b32_e32 v7, v11
	v_pk_add_f32 v[8:9], v[44:45], v[4:5] op_sel:[0,1] op_sel_hi:[1,0]
	v_pk_add_f32 v[4:5], v[44:45], v[4:5] op_sel:[0,1] op_sel_hi:[1,0] neg_lo:[0,1] neg_hi:[0,1]
	ds_write_b64 v14, v[6:7] offset:16
	v_mul_u32_u24_e32 v6, 3, v213
	v_accvgpr_write_b32 a81, v14
	v_lshlrev_b32_e32 v14, 3, v6
	v_mov_b32_e32 v6, v8
	v_mov_b32_e32 v7, v5
	s_mov_b64 s[6:7], 0x21c
	ds_write2_b64 v14, v[12:13], v[6:7] offset1:1
	v_pk_mul_f32 v[6:7], v[48:49], s[2:3] op_sel_hi:[1,0]
	v_mov_b32_e32 v5, v9
	v_lshl_add_u64 v[160:161], v[184:185], 0, s[6:7]
	v_pk_add_f32 v[10:11], v[62:63], v[6:7] op_sel:[0,1] op_sel_hi:[1,0]
	v_pk_add_f32 v[6:7], v[62:63], v[6:7] op_sel:[0,1] op_sel_hi:[1,0] neg_lo:[0,1] neg_hi:[0,1]
	ds_write_b64 v14, v[4:5] offset:16
	v_mul_u32_u24_e32 v4, 3, v160
	v_lshlrev_b32_e32 v12, 3, v4
	v_mov_b32_e32 v4, v10
	v_mov_b32_e32 v5, v7
	s_mov_b64 s[6:7], 0x276
	ds_write2_b64 v12, v[54:55], v[4:5] offset1:1
	v_pk_mul_f32 v[4:5], v[52:53], s[2:3] op_sel_hi:[1,0]
	v_mov_b32_e32 v7, v11
	v_lshl_add_u64 v[154:155], v[184:185], 0, s[6:7]
	v_pk_add_f32 v[8:9], v[50:51], v[4:5] op_sel:[0,1] op_sel_hi:[1,0]
	v_pk_add_f32 v[4:5], v[50:51], v[4:5] op_sel:[0,1] op_sel_hi:[1,0] neg_lo:[0,1] neg_hi:[0,1]
	ds_write_b64 v12, v[6:7] offset:16
	v_mul_u32_u24_e32 v6, 3, v154
	v_accvgpr_write_b32 a83, v12
	v_lshlrev_b32_e32 v12, 3, v6
	v_mov_b32_e32 v6, v8
	v_mov_b32_e32 v7, v5
	s_mov_b64 s[6:7], 0x2d0
	ds_write2_b64 v12, v[60:61], v[6:7] offset1:1
	v_pk_fma_f32 v[0:1], v[64:65], 0.5, v[0:1] op_sel_hi:[1,0,1] neg_lo:[1,0,0] neg_hi:[1,0,0]
	v_pk_mul_f32 v[6:7], v[24:25], s[2:3] op_sel_hi:[1,0]
	v_mov_b32_e32 v5, v9
	v_lshl_add_u64 v[178:179], v[184:185], 0, s[6:7]
	v_pk_add_f32 v[10:11], v[0:1], v[6:7] op_sel:[0,1] op_sel_hi:[1,0]
	v_pk_add_f32 v[0:1], v[0:1], v[6:7] op_sel:[0,1] op_sel_hi:[1,0] neg_lo:[0,1] neg_hi:[0,1]
	ds_write_b64 v12, v[4:5] offset:16
	v_mul_u32_u24_e32 v4, 3, v178
	v_lshlrev_b32_e32 v6, 3, v4
	v_mov_b32_e32 v5, v1
	s_mov_b64 s[6:7], 0x32a
	v_mov_b32_e32 v1, v11
	v_mov_b32_e32 v4, v10
	v_pk_fma_f32 v[2:3], v[66:67], 0.5, v[2:3] op_sel_hi:[1,0,1] neg_lo:[1,0,0] neg_hi:[1,0,0]
	v_lshl_add_u64 v[162:163], v[184:185], 0, s[6:7]
	ds_write_b64 v6, v[0:1] offset:16
	v_pk_mul_f32 v[0:1], v[26:27], s[2:3] op_sel_hi:[1,0]
	ds_write2_b64 v6, v[28:29], v[4:5] offset1:1
	v_pk_add_f32 v[4:5], v[2:3], v[0:1] op_sel:[0,1] op_sel_hi:[1,0]
	v_pk_add_f32 v[0:1], v[2:3], v[0:1] op_sel:[0,1] op_sel_hi:[1,0] neg_lo:[0,1] neg_hi:[0,1]
	v_mul_u32_u24_e32 v2, 3, v162
	v_accvgpr_write_b32 a85, v6
	v_lshlrev_b32_e32 v6, 3, v2
	v_mov_b32_e32 v3, v1
	v_mov_b32_e32 v1, v5
	s_movk_i32 s6, 0xab
	ds_write_b64 v6, v[0:1] offset:16
	v_mul_lo_u16_sdwa v0, v56, s6 dst_sel:DWORD dst_unused:UNUSED_PAD src0_sel:BYTE_0 src1_sel:DWORD
	s_mov_b32 s7, 0xaaab
	v_lshrrev_b16_e32 v104, 9, v0
	v_mul_u32_u24_sdwa v0, v58, s7 dst_sel:DWORD dst_unused:UNUSED_PAD src0_sel:WORD_0 src1_sel:DWORD
	v_lshrrev_b32_e32 v57, 17, v0
	v_mul_lo_u16_e32 v0, 3, v57
	v_sub_u16_e32 v59, v58, v0
	v_mul_lo_u16_e32 v0, 0x48, v59
	v_mov_b32_e32 v1, v197
	v_mov_b32_e32 v2, v4
	v_lshl_add_u64 v[0:1], s[10:11], 0, v[0:1]
	ds_write2_b64 v6, v[30:31], v[2:3] offset1:1
	s_waitcnt lgkmcnt(0)
	s_barrier
	global_load_dwordx4 v[22:25], v[0:1], off
	v_mul_lo_u16_e32 v2, 3, v104
	v_sub_u16_e32 v2, v56, v2
	v_and_b32_e32 v105, 0xff, v2
	v_mov_b64_e32 v[52:53], s[10:11]
	v_mad_u64_u32 v[2:3], s[8:9], v105, s13, v[52:53]
	v_accvgpr_write_b32 a73, v34
	global_load_dwordx4 v[86:89], v[2:3], off
	global_load_dwordx4 v[112:115], v[0:1], off offset:16
	global_load_dwordx4 v[32:35], v[2:3], off offset:16
	;; [unrolled: 1-line block ×6, first 2 shown]
	global_load_dwordx2 v[180:181], v[0:1], off offset:64
	global_load_dwordx2 v[246:247], v[2:3], off offset:64
	v_mul_lo_u16_sdwa v0, v184, s6 dst_sel:DWORD dst_unused:UNUSED_PAD src0_sel:BYTE_0 src1_sel:DWORD
	v_accvgpr_write_b32 a77, v20
	v_lshrrev_b16_e32 v20, 9, v0
	v_mul_lo_u16_e32 v0, 3, v20
	v_sub_u16_e32 v0, v184, v0
	v_and_b32_e32 v21, 0xff, v0
	v_mad_u64_u32 v[16:17], s[6:7], v21, s13, v[52:53]
	global_load_dwordx4 v[40:43], v[16:17], off
	global_load_dwordx4 v[60:63], v[16:17], off offset:16
	ds_read2_b64 v[0:3], v202 offset0:104 offset1:194
	v_accvgpr_write_b32 a86, v6
	v_accvgpr_write_b32 a84, v12
	;; [unrolled: 1-line block ×5, first 2 shown]
	v_mov_b32_e32 v210, v72
	v_accvgpr_write_b32 a170, v74
	global_load_dwordx2 v[182:183], v[16:17], off offset:64
	s_mov_b32 s6, 0x3f737871
	s_mov_b32 s8, 0x3f167918
	;; [unrolled: 1-line block ×5, first 2 shown]
	v_mov_b32_e32 v163, v197
	s_waitcnt vmcnt(12) lgkmcnt(0)
	v_pk_mul_f32 v[4:5], v[2:3], v[22:23] op_sel_hi:[1,0]
	v_mov_b32_e32 v6, v23
	v_pk_fma_f32 v[12:13], v[2:3], v[6:7], v[4:5] op_sel:[0,0,1] op_sel_hi:[1,1,0]
	ds_read2_b64 v[6:9], v211 offset0:132 offset1:222
	v_pk_fma_f32 v[18:19], v[2:3], v[22:23], v[4:5] op_sel:[0,1,1] op_sel_hi:[1,1,0] neg_lo:[1,0,0] neg_hi:[1,0,0]
	s_waitcnt vmcnt(11)
	v_pk_mul_f32 v[2:3], v[0:1], v[86:87] op_sel:[0,1]
	s_waitcnt vmcnt(9)
	v_mov_b64_e32 v[108:109], v[34:35]
	v_pk_fma_f32 v[64:65], v[0:1], v[86:87], v[2:3] op_sel:[0,0,1] op_sel_hi:[1,1,0] neg_lo:[0,0,1] neg_hi:[0,0,1]
	v_pk_fma_f32 v[94:95], v[0:1], v[86:87], v[2:3] op_sel:[0,0,1] op_sel_hi:[1,0,0]
	s_waitcnt lgkmcnt(0)
	v_pk_mul_f32 v[10:11], v[8:9], v[112:113] op_sel_hi:[1,0]
	v_mov_b32_e32 v0, v113
	v_pk_fma_f32 v[4:5], v[8:9], v[0:1], v[10:11] op_sel:[0,0,1] op_sel_hi:[1,1,0]
	ds_read2_b64 v[0:3], v190 offset0:160 offset1:250
	v_pk_fma_f32 v[76:77], v[8:9], v[112:113], v[10:11] op_sel:[0,1,1] op_sel_hi:[1,1,0] neg_lo:[1,0,0] neg_hi:[1,0,0]
	v_pk_mul_f32 v[8:9], v[6:7], v[32:33] op_sel:[0,1]
	v_mov_b64_e32 v[106:107], v[32:33]
	v_pk_fma_f32 v[66:67], v[6:7], v[32:33], v[8:9] op_sel:[0,0,1] op_sel_hi:[1,1,0] neg_lo:[0,0,1] neg_hi:[0,0,1]
	v_pk_fma_f32 v[96:97], v[6:7], v[32:33], v[8:9] op_sel:[0,0,1] op_sel_hi:[1,0,0]
	ds_read2_b64 v[8:11], v207 offset0:60 offset1:150
	s_waitcnt vmcnt(8) lgkmcnt(1)
	v_pk_mul_f32 v[14:15], v[2:3], v[198:199] op_sel_hi:[1,0]
	v_mov_b32_e32 v6, v199
	ds_read2_b64 v[34:37], v186 offset0:88 offset1:178
	v_pk_fma_f32 v[6:7], v[2:3], v[6:7], v[14:15] op_sel:[0,0,1] op_sel_hi:[1,1,0]
	v_pk_fma_f32 v[78:79], v[2:3], v[198:199], v[14:15] op_sel:[0,1,1] op_sel_hi:[1,1,0] neg_lo:[1,0,0] neg_hi:[1,0,0]
	s_waitcnt vmcnt(7)
	v_pk_mul_f32 v[2:3], v[0:1], v[28:29] op_sel:[0,1]
	v_accvgpr_write_b32 a70, v86
	v_pk_fma_f32 v[68:69], v[0:1], v[28:29], v[2:3] op_sel:[0,0,1] op_sel_hi:[1,1,0] neg_lo:[0,0,1] neg_hi:[0,0,1]
	v_pk_fma_f32 v[100:101], v[0:1], v[28:29], v[2:3] op_sel:[0,0,1] op_sel_hi:[1,0,0]
	s_waitcnt vmcnt(6) lgkmcnt(1)
	v_pk_mul_f32 v[0:1], v[10:11], v[44:45] op_sel_hi:[1,0]
	v_mov_b32_e32 v2, v45
	v_pk_fma_f32 v[14:15], v[10:11], v[2:3], v[0:1] op_sel:[0,0,1] op_sel_hi:[1,1,0]
	v_pk_fma_f32 v[80:81], v[10:11], v[44:45], v[0:1] op_sel:[0,1,1] op_sel_hi:[1,1,0] neg_lo:[1,0,0] neg_hi:[1,0,0]
	s_waitcnt vmcnt(5)
	v_pk_mul_f32 v[0:1], v[8:9], v[48:49] op_sel:[0,1]
	s_waitcnt vmcnt(4) lgkmcnt(0)
	v_pk_mul_f32 v[2:3], v[36:37], v[180:181] op_sel_hi:[1,0]
	v_pk_fma_f32 v[70:71], v[8:9], v[48:49], v[0:1] op_sel:[0,0,1] op_sel_hi:[1,1,0] neg_lo:[0,0,1] neg_hi:[0,0,1]
	v_pk_fma_f32 v[0:1], v[8:9], v[48:49], v[0:1] op_sel:[0,0,1] op_sel_hi:[1,0,0]
	ds_read2_b64 v[8:11], v189 offset0:28 offset1:118
	v_mov_b32_e32 v0, v181
	v_pk_fma_f32 v[32:33], v[36:37], v[0:1], v[2:3] op_sel:[0,0,1] op_sel_hi:[1,1,0]
	v_pk_fma_f32 v[84:85], v[36:37], v[180:181], v[2:3] op_sel:[0,1,1] op_sel_hi:[1,1,0] neg_lo:[1,0,0] neg_hi:[1,0,0]
	ds_read2_b64 v[36:39], v188 offset0:80 offset1:170
	s_waitcnt vmcnt(3)
	v_pk_mul_f32 v[2:3], v[34:35], v[246:247] op_sel:[0,1]
	v_mov_b32_e32 v0, v89
	v_pk_fma_f32 v[72:73], v[34:35], v[246:247], v[2:3] op_sel:[0,0,1] op_sel_hi:[1,1,0] neg_lo:[0,0,1] neg_hi:[0,0,1]
	v_pk_fma_f32 v[2:3], v[34:35], v[246:247], v[2:3] op_sel:[0,0,1] op_sel_hi:[1,0,0]
	s_waitcnt lgkmcnt(1)
	v_pk_mul_f32 v[34:35], v[10:11], v[0:1] op_sel_hi:[1,0]
	s_waitcnt vmcnt(2)
	v_mov_b32_e32 v0, v43
	v_pk_fma_f32 v[74:75], v[10:11], v[88:89], v[34:35] op_sel:[0,0,1] op_sel_hi:[1,1,0] neg_lo:[0,0,1] neg_hi:[0,0,1]
	v_pk_fma_f32 v[102:103], v[10:11], v[88:89], v[34:35] op_sel:[0,0,1] op_sel_hi:[1,0,0]
	v_pk_mul_f32 v[10:11], v[8:9], v[0:1] op_sel_hi:[1,0]
	v_mov_b32_e32 v0, v25
	v_accvgpr_write_b32 a71, v87
	v_accvgpr_write_b32 a72, v88
	v_pk_fma_f32 v[110:111], v[8:9], v[42:43], v[10:11] op_sel:[0,0,1] op_sel_hi:[1,1,0] neg_lo:[0,0,1] neg_hi:[0,0,1]
	v_pk_fma_f32 v[86:87], v[8:9], v[42:43], v[10:11] op_sel:[0,0,1] op_sel_hi:[1,0,0]
	s_waitcnt lgkmcnt(0)
	v_pk_mul_f32 v[8:9], v[36:37], v[0:1] op_sel_hi:[1,0]
	v_accvgpr_write_b32 a98, v89
	v_pk_fma_f32 v[34:35], v[36:37], v[24:25], v[8:9] op_sel:[0,0,1] op_sel_hi:[1,1,0] neg_lo:[0,0,1] neg_hi:[0,0,1]
	v_pk_fma_f32 v[88:89], v[36:37], v[24:25], v[8:9] op_sel:[0,0,1] op_sel_hi:[1,0,0]
	ds_read2_b64 v[8:11], v205 offset0:56 offset1:146
	s_waitcnt vmcnt(1)
	v_pk_mul_f32 v[36:37], v[38:39], v[60:61] op_sel:[0,1]
	v_mov_b32_e32 v0, v109
	v_pk_fma_f32 v[116:117], v[38:39], v[60:61], v[36:37] op_sel:[0,0,1] op_sel_hi:[1,1,0] neg_lo:[0,0,1] neg_hi:[0,0,1]
	v_pk_fma_f32 v[92:93], v[38:39], v[60:61], v[36:37] op_sel:[0,0,1] op_sel_hi:[1,0,0]
	s_waitcnt lgkmcnt(0)
	v_pk_mul_f32 v[36:37], v[10:11], v[0:1] op_sel_hi:[1,0]
	v_mov_b32_e32 v0, v63
	v_pk_fma_f32 v[82:83], v[10:11], v[108:109], v[36:37] op_sel:[0,0,1] op_sel_hi:[1,1,0] neg_lo:[0,0,1] neg_hi:[0,0,1]
	v_pk_fma_f32 v[118:119], v[10:11], v[108:109], v[36:37] op_sel:[0,0,1] op_sel_hi:[1,0,0]
	v_accvgpr_write_b32 a94, v106
	v_pk_mul_f32 v[10:11], v[8:9], v[0:1] op_sel_hi:[1,0]
	v_accvgpr_write_b32 a95, v107
	v_accvgpr_write_b32 a96, v108
	v_pk_fma_f32 v[120:121], v[8:9], v[62:63], v[10:11] op_sel:[0,0,1] op_sel_hi:[1,1,0] neg_lo:[0,0,1] neg_hi:[0,0,1]
	v_pk_fma_f32 v[106:107], v[8:9], v[62:63], v[10:11] op_sel:[0,0,1] op_sel_hi:[1,0,0]
	ds_read2_b64 v[8:11], v194 offset0:108 offset1:198
	v_mov_b32_e32 v0, v115
	v_accvgpr_write_b32 a78, v112
	v_accvgpr_write_b32 a112, v109
	;; [unrolled: 1-line block ×3, first 2 shown]
	s_waitcnt lgkmcnt(0)
	v_pk_mul_f32 v[38:39], v[8:9], v[0:1] op_sel_hi:[1,0]
	v_accvgpr_write_b32 a79, v113
	v_pk_fma_f32 v[36:37], v[8:9], v[114:115], v[38:39] op_sel:[0,0,1] op_sel_hi:[1,1,0] neg_lo:[0,0,1] neg_hi:[0,0,1]
	v_pk_fma_f32 v[108:109], v[8:9], v[114:115], v[38:39] op_sel:[0,0,1] op_sel_hi:[1,0,0]
	v_accvgpr_write_b32 a80, v114
	global_load_dwordx4 v[112:115], v[16:17], off offset:32
	global_load_dwordx4 v[124:127], v[16:17], off offset:48
	v_mov_b32_e32 v0, v31
	v_mov_b32_e32 v37, v109
	;; [unrolled: 1-line block ×3, first 2 shown]
	ds_read2_b64 v[106:109], v196 offset1:90
	v_mov_b32_e32 v13, v19
	v_mov_b32_e32 v111, v87
	;; [unrolled: 1-line block ×15, first 2 shown]
	v_pk_add_f32 v[100:101], v[72:73], v[70:71] neg_lo:[0,1] neg_hi:[0,1]
	v_pk_add_f32 v[102:103], v[66:67], v[72:73] neg_lo:[0,1] neg_hi:[0,1]
	v_accvgpr_write_b32 a100, v43
	v_accvgpr_write_b32 a160, v47
	;; [unrolled: 1-line block ×8, first 2 shown]
	v_mov_b32_e32 v63, v186
	v_accvgpr_write_b32 a148, v51
	s_waitcnt vmcnt(1)
	v_pk_mul_f32 v[8:9], v[10:11], v[112:113] op_sel:[0,1]
	s_nop 0
	v_pk_fma_f32 v[16:17], v[10:11], v[112:113], v[8:9] op_sel:[0,0,1] op_sel_hi:[1,1,0] neg_lo:[0,0,1] neg_hi:[0,0,1]
	v_pk_fma_f32 v[122:123], v[10:11], v[112:113], v[8:9] op_sel:[0,0,1] op_sel_hi:[1,0,0]
	ds_read2_b64 v[8:11], v195 offset0:84 offset1:174
	v_mov_b32_e32 v17, v123
	s_waitcnt lgkmcnt(0)
	v_pk_mul_f32 v[38:39], v[10:11], v[0:1] op_sel_hi:[1,0]
	v_mov_b32_e32 v0, v115
	v_pk_fma_f32 v[90:91], v[10:11], v[30:31], v[38:39] op_sel:[0,0,1] op_sel_hi:[1,1,0] neg_lo:[0,0,1] neg_hi:[0,0,1]
	v_pk_fma_f32 v[128:129], v[10:11], v[30:31], v[38:39] op_sel:[0,0,1] op_sel_hi:[1,0,0]
	v_pk_mul_f32 v[10:11], v[8:9], v[0:1] op_sel_hi:[1,0]
	v_mov_b32_e32 v0, v201
	v_pk_fma_f32 v[130:131], v[8:9], v[114:115], v[10:11] op_sel:[0,0,1] op_sel_hi:[1,1,0] neg_lo:[0,0,1] neg_hi:[0,0,1]
	v_pk_fma_f32 v[132:133], v[8:9], v[114:115], v[10:11] op_sel:[0,0,1] op_sel_hi:[1,0,0]
	ds_read2_b64 v[8:11], v204 offset0:8 offset1:98
	v_mov_b32_e32 v131, v133
	v_mov_b32_e32 v91, v129
	s_waitcnt lgkmcnt(0)
	v_pk_mul_f32 v[54:55], v[8:9], v[0:1] op_sel_hi:[1,0]
	s_nop 0
	v_pk_fma_f32 v[38:39], v[8:9], v[200:201], v[54:55] op_sel:[0,0,1] op_sel_hi:[1,1,0] neg_lo:[0,0,1] neg_hi:[0,0,1]
	v_pk_fma_f32 v[134:135], v[8:9], v[200:201], v[54:55] op_sel:[0,0,1] op_sel_hi:[1,0,0]
	s_waitcnt vmcnt(0)
	v_pk_mul_f32 v[8:9], v[10:11], v[124:125] op_sel:[0,1]
	v_mov_b32_e32 v0, v51
	v_pk_fma_f32 v[136:137], v[10:11], v[124:125], v[8:9] op_sel:[0,0,1] op_sel_hi:[1,1,0] neg_lo:[0,0,1] neg_hi:[0,0,1]
	v_pk_fma_f32 v[138:139], v[10:11], v[124:125], v[8:9] op_sel:[0,0,1] op_sel_hi:[1,0,0]
	ds_read2_b64 v[8:11], v206 offset0:112 offset1:202
	v_mov_b32_e32 v39, v135
	v_mov_b32_e32 v137, v139
	v_pk_add_f32 v[80:81], v[36:37], v[38:39] neg_lo:[0,1] neg_hi:[0,1]
	s_waitcnt lgkmcnt(0)
	v_pk_mul_f32 v[54:55], v[10:11], v[0:1] op_sel_hi:[1,0]
	v_mov_b32_e32 v0, v127
	v_pk_fma_f32 v[98:99], v[10:11], v[50:51], v[54:55] op_sel:[0,0,1] op_sel_hi:[1,1,0] neg_lo:[0,0,1] neg_hi:[0,0,1]
	v_pk_fma_f32 v[140:141], v[10:11], v[50:51], v[54:55] op_sel:[0,0,1] op_sel_hi:[1,0,0]
	v_pk_mul_f32 v[10:11], v[8:9], v[0:1] op_sel_hi:[1,0]
	v_mov_b32_e32 v0, v47
	v_pk_fma_f32 v[142:143], v[8:9], v[126:127], v[10:11] op_sel:[0,0,1] op_sel_hi:[1,1,0] neg_lo:[0,0,1] neg_hi:[0,0,1]
	v_pk_fma_f32 v[144:145], v[8:9], v[126:127], v[10:11] op_sel:[0,0,1] op_sel_hi:[1,0,0]
	ds_read2_b64 v[8:11], v191 offset0:36 offset1:126
	v_mov_b32_e32 v143, v145
	v_pk_add_f32 v[122:123], v[110:111], v[142:143] neg_lo:[0,1] neg_hi:[0,1]
	v_pk_add_f32 v[144:145], v[120:121], v[130:131] neg_lo:[0,1] neg_hi:[0,1]
	v_pk_mul_f32 v[76:77], v[122:123], s[6:7] op_sel_hi:[1,0]
	s_waitcnt lgkmcnt(0)
	v_pk_mul_f32 v[146:147], v[8:9], v[0:1] op_sel_hi:[1,0]
	v_mul_u32_u24_e32 v0, 30, v20
	v_pk_fma_f32 v[54:55], v[8:9], v[46:47], v[146:147] op_sel:[0,0,1] op_sel_hi:[1,1,0] neg_lo:[0,0,1] neg_hi:[0,0,1]
	v_pk_fma_f32 v[8:9], v[8:9], v[46:47], v[146:147] op_sel:[0,0,1] op_sel_hi:[1,0,0]
	v_pk_mul_f32 v[146:147], v[10:11], v[182:183] op_sel:[0,1]
	v_mov_b32_e32 v55, v9
	v_pk_fma_f32 v[148:149], v[10:11], v[182:183], v[146:147] op_sel:[0,0,1] op_sel_hi:[1,1,0] neg_lo:[0,0,1] neg_hi:[0,0,1]
	v_pk_fma_f32 v[146:147], v[10:11], v[182:183], v[146:147] op_sel:[0,0,1] op_sel_hi:[1,0,0]
	ds_read2_b64 v[8:11], v210 offset0:52 offset1:142
	v_mov_b32_e32 v149, v147
	v_pk_add_f32 v[150:151], v[148:149], v[136:137] neg_lo:[0,1] neg_hi:[0,1]
	v_pk_add_f32 v[156:157], v[116:117], v[148:149] neg_lo:[0,1] neg_hi:[0,1]
	v_add_lshl_u32 v0, v0, v21, 3
	s_waitcnt lgkmcnt(0)
	v_pk_mul_f32 v[18:19], v[10:11], v[40:41] op_sel:[0,1]
	v_pk_mul_f32 v[158:159], v[156:157], s[6:7] op_sel_hi:[1,0]
	v_pk_fma_f32 v[134:135], v[10:11], v[40:41], v[18:19] op_sel:[0,0,1] op_sel_hi:[1,1,0] neg_lo:[0,0,1] neg_hi:[0,0,1]
	v_pk_fma_f32 v[10:11], v[10:11], v[40:41], v[18:19] op_sel:[0,0,1] op_sel_hi:[1,0,0]
	v_pk_add_f32 v[18:19], v[142:143], v[130:131] neg_lo:[0,1] neg_hi:[0,1]
	v_mov_b32_e32 v135, v11
	v_pk_add_f32 v[10:11], v[110:111], v[120:121] neg_lo:[0,1] neg_hi:[0,1]
	s_nop 0
	v_pk_add_f32 v[18:19], v[10:11], v[18:19]
	v_pk_add_f32 v[10:11], v[120:121], v[130:131]
	s_barrier
	v_pk_fma_f32 v[10:11], v[10:11], 0.5, v[106:107] op_sel_hi:[1,0,1] neg_lo:[1,0,0] neg_hi:[1,0,0]
	s_nop 0
	v_pk_add_f32 v[132:133], v[10:11], v[76:77] op_sel:[0,1] op_sel_hi:[1,0]
	v_pk_add_f32 v[138:139], v[10:11], v[76:77] op_sel:[0,1] op_sel_hi:[1,0] neg_lo:[0,1] neg_hi:[0,1]
	v_pk_add_f32 v[10:11], v[36:37], v[38:39]
	v_pk_add_f32 v[76:77], v[34:35], v[54:55] neg_lo:[0,1] neg_hi:[0,1]
	v_pk_fma_f32 v[10:11], v[10:11], 0.5, v[8:9] op_sel_hi:[1,0,1] neg_lo:[1,0,0] neg_hi:[1,0,0]
	v_mov_b32_e32 v99, v141
	v_pk_fma_f32 v[78:79], v[76:77], s[6:7], v[10:11] op_sel:[1,0,0] op_sel_hi:[0,0,1] neg_lo:[1,0,0] neg_hi:[1,0,0]
	v_pk_fma_f32 v[10:11], v[76:77], s[6:7], v[10:11] op_sel:[1,0,0] op_sel_hi:[0,0,1]
	v_pk_fma_f32 v[84:85], v[80:81], s[8:9], v[10:11] op_sel:[1,0,0] op_sel_hi:[0,0,1]
	v_pk_add_f32 v[10:11], v[6:7], v[14:15]
	v_pk_fma_f32 v[86:87], v[80:81], s[8:9], v[78:79] op_sel:[1,0,0] op_sel_hi:[0,0,1] neg_lo:[1,0,0] neg_hi:[1,0,0]
	v_pk_fma_f32 v[78:79], v[10:11], 0.5, v[12:13] op_sel_hi:[1,0,1] neg_lo:[1,0,0] neg_hi:[1,0,0]
	v_pk_add_f32 v[10:11], v[4:5], v[32:33] neg_lo:[0,1] neg_hi:[0,1]
	v_accvgpr_write_b32 a97, v0
	v_pk_fma_f32 v[92:93], v[10:11], s[6:7], v[78:79] op_sel:[1,0,0] op_sel_hi:[0,0,1]
	v_pk_fma_f32 v[88:89], v[10:11], s[6:7], v[78:79] op_sel:[1,0,0] op_sel_hi:[0,0,1] neg_lo:[1,0,0] neg_hi:[1,0,0]
	v_pk_add_f32 v[78:79], v[6:7], v[14:15] neg_lo:[0,1] neg_hi:[0,1]
	v_pk_add_f32 v[2:3], v[98:99], v[90:91] neg_lo:[0,1] neg_hi:[0,1]
	v_pk_fma_f32 v[88:89], v[78:79], s[8:9], v[88:89] op_sel:[1,0,0] op_sel_hi:[0,0,1] neg_lo:[1,0,0] neg_hi:[1,0,0]
	v_pk_fma_f32 v[92:93], v[78:79], s[8:9], v[92:93] op_sel:[1,0,0] op_sel_hi:[0,0,1]
	s_mov_b32 s9, 0xbf167918
	v_pk_mul_f32 v[146:147], v[144:145], s[8:9] op_sel_hi:[1,0]
	s_mov_b32 s18, s9
	v_pk_add_f32 v[138:139], v[138:139], v[146:147] op_sel:[0,1] op_sel_hi:[1,0] neg_lo:[0,1] neg_hi:[0,1]
	v_pk_add_f32 v[132:133], v[132:133], v[146:147] op_sel:[0,1] op_sel_hi:[1,0]
	v_pk_add_f32 v[146:147], v[116:117], v[16:17] neg_lo:[0,1] neg_hi:[0,1]
	v_mov_b32_e32 v172, v132
	v_pk_add_f32 v[146:147], v[146:147], v[150:151]
	v_pk_add_f32 v[150:151], v[16:17], v[136:137]
	v_mov_b32_e32 v173, v139
	v_pk_fma_f32 v[150:151], v[150:151], 0.5, v[134:135] op_sel_hi:[1,0,1] neg_lo:[1,0,0] neg_hi:[1,0,0]
	v_mov_b32_e32 v139, v133
	v_pk_add_f32 v[164:165], v[150:151], v[158:159] op_sel:[0,1] op_sel_hi:[1,0]
	v_pk_add_f32 v[150:151], v[150:151], v[158:159] op_sel:[0,1] op_sel_hi:[1,0] neg_lo:[0,1] neg_hi:[0,1]
	v_pk_add_f32 v[158:159], v[16:17], v[136:137] neg_lo:[0,1] neg_hi:[0,1]
	v_pk_fma_f32 v[172:173], v[18:19], s[12:13], v[172:173] op_sel_hi:[1,0,1]
	v_pk_mul_f32 v[166:167], v[158:159], s[8:9] op_sel_hi:[1,0]
	v_pk_fma_f32 v[18:19], v[18:19], s[12:13], v[138:139] op_sel_hi:[1,0,1]
	v_pk_add_f32 v[150:151], v[150:151], v[166:167] op_sel:[0,1] op_sel_hi:[1,0] neg_lo:[0,1] neg_hi:[0,1]
	v_pk_add_f32 v[164:165], v[164:165], v[166:167] op_sel:[0,1] op_sel_hi:[1,0]
	v_mov_b32_e32 v167, v151
	v_mov_b32_e32 v166, v164
	v_pk_fma_f32 v[166:167], v[146:147], s[12:13], v[166:167] op_sel_hi:[1,0,1]
	v_mov_b32_e32 v151, v165
	v_pk_mul_f32 v[168:169], v[166:167], s[8:9] op_sel_hi:[1,0]
	v_mul_u32_u24_e32 v20, 30, v104
	v_pk_fma_f32 v[170:171], v[166:167], s[14:15], v[168:169] op_sel:[0,0,1] op_sel_hi:[1,0,0]
	v_pk_fma_f32 v[166:167], v[166:167], s[14:15], v[168:169] op_sel:[0,0,1] op_sel_hi:[1,0,0] neg_lo:[0,0,1] neg_hi:[0,0,1]
	v_pk_add_f32 v[168:169], v[134:135], v[116:117]
	v_mov_b32_e32 v171, v167
	v_pk_add_f32 v[166:167], v[106:107], v[110:111]
	v_pk_add_f32 v[168:169], v[168:169], v[16:17]
	;; [unrolled: 1-line block ×3, first 2 shown]
	v_pk_add_f32 v[120:121], v[120:121], v[110:111] neg_lo:[0,1] neg_hi:[0,1]
	v_pk_add_f32 v[166:167], v[166:167], v[130:131]
	v_pk_add_f32 v[110:111], v[110:111], v[142:143]
	v_pk_add_f32 v[130:131], v[130:131], v[142:143] neg_lo:[0,1] neg_hi:[0,1]
	v_pk_add_f32 v[16:17], v[16:17], v[116:117] neg_lo:[0,1] neg_hi:[0,1]
	v_pk_add_f32 v[120:121], v[120:121], v[130:131]
	v_pk_add_f32 v[130:131], v[116:117], v[148:149]
	v_pk_add_f32 v[116:117], v[136:137], v[148:149] neg_lo:[0,1] neg_hi:[0,1]
	v_pk_fma_f32 v[106:107], v[110:111], 0.5, v[106:107] op_sel_hi:[1,0,1] neg_lo:[1,0,0] neg_hi:[1,0,0]
	v_pk_mul_f32 v[110:111], v[144:145], s[6:7] op_sel_hi:[1,0]
	v_pk_add_f32 v[16:17], v[16:17], v[116:117]
	v_pk_add_f32 v[116:117], v[106:107], v[110:111] op_sel:[0,1] op_sel_hi:[1,0] neg_lo:[0,1] neg_hi:[0,1]
	v_pk_add_f32 v[106:107], v[106:107], v[110:111] op_sel:[0,1] op_sel_hi:[1,0]
	v_pk_mul_f32 v[110:111], v[122:123], s[8:9] op_sel_hi:[1,0]
	v_pk_fma_f32 v[130:131], v[130:131], 0.5, v[134:135] op_sel_hi:[1,0,1] neg_lo:[1,0,0] neg_hi:[1,0,0]
	v_pk_add_f32 v[106:107], v[106:107], v[110:111] op_sel:[0,1] op_sel_hi:[1,0] neg_lo:[0,1] neg_hi:[0,1]
	v_pk_add_f32 v[110:111], v[116:117], v[110:111] op_sel:[0,1] op_sel_hi:[1,0]
	v_pk_mul_f32 v[116:117], v[158:159], s[6:7] op_sel_hi:[1,0]
	v_pk_add_f32 v[168:169], v[168:169], v[136:137]
	v_pk_add_f32 v[122:123], v[130:131], v[116:117] op_sel:[0,1] op_sel_hi:[1,0] neg_lo:[0,1] neg_hi:[0,1]
	v_pk_add_f32 v[116:117], v[130:131], v[116:117] op_sel:[0,1] op_sel_hi:[1,0]
	v_pk_mul_f32 v[130:131], v[156:157], s[8:9] op_sel_hi:[1,0]
	v_pk_add_f32 v[166:167], v[166:167], v[142:143]
	v_pk_add_f32 v[116:117], v[116:117], v[130:131] op_sel:[0,1] op_sel_hi:[1,0] neg_lo:[0,1] neg_hi:[0,1]
	v_pk_add_f32 v[122:123], v[122:123], v[130:131] op_sel:[0,1] op_sel_hi:[1,0]
	v_mov_b32_e32 v131, v117
	v_mov_b32_e32 v130, v122
	v_pk_fma_f32 v[130:131], v[16:17], s[12:13], v[130:131] op_sel_hi:[1,0,1]
	v_mov_b32_e32 v117, v123
	v_pk_mul_f32 v[134:135], v[130:131], s[6:7] op_sel_hi:[1,0]
	v_pk_fma_f32 v[16:17], v[16:17], s[12:13], v[116:117] op_sel_hi:[1,0,1]
	v_pk_fma_f32 v[136:137], v[130:131], s[12:13], v[134:135] op_sel:[0,0,1] op_sel_hi:[1,0,0]
	v_pk_fma_f32 v[130:131], v[130:131], s[12:13], v[134:135] op_sel:[0,0,1] op_sel_hi:[1,0,0] neg_lo:[0,0,1] neg_hi:[0,0,1]
	v_pk_mul_f32 v[116:117], v[16:17], s[12:13] op_sel_hi:[1,0]
	v_mov_b32_e32 v137, v131
	v_mov_b32_e32 v130, v110
	;; [unrolled: 1-line block ×4, first 2 shown]
	v_pk_fma_f32 v[110:111], v[120:121], s[12:13], v[130:131] op_sel_hi:[1,0,1]
	v_pk_fma_f32 v[106:107], v[120:121], s[12:13], v[106:107] op_sel_hi:[1,0,1]
	v_pk_fma_f32 v[16:17], v[16:17], s[16:17], v[116:117] op_sel:[0,0,1] op_sel_hi:[1,1,0] neg_lo:[0,0,1] neg_hi:[0,0,1]
	v_pk_add_f32 v[116:117], v[110:111], v[136:137]
	v_pk_add_f32 v[120:121], v[106:107], v[16:17] op_sel:[0,1] op_sel_hi:[1,0]
	ds_write2_b64 v0, v[116:117], v[120:121] offset0:6 offset1:9
	v_pk_fma_f32 v[116:117], v[146:147], s[12:13], v[150:151] op_sel_hi:[1,0,1]
	v_pk_add_f32 v[168:169], v[168:169], v[148:149]
	v_pk_mul_f32 v[120:121], v[116:117], s[14:15] op_sel_hi:[1,0]
	v_pk_add_f32 v[174:175], v[166:167], v[168:169]
	v_pk_fma_f32 v[116:117], v[116:117], s[18:19], v[120:121] op_sel:[0,0,1] op_sel_hi:[1,1,0] neg_lo:[0,0,1] neg_hi:[0,0,1]
	v_pk_add_f32 v[120:121], v[166:167], v[168:169] neg_lo:[0,1] neg_hi:[0,1]
	v_pk_add_f32 v[122:123], v[18:19], v[116:117] op_sel:[0,1] op_sel_hi:[1,0]
	v_pk_add_f32 v[176:177], v[172:173], v[170:171]
	ds_write2_b64 v0, v[122:123], v[120:121] offset0:12 offset1:15
	v_pk_add_f32 v[120:121], v[172:173], v[170:171] neg_lo:[0,1] neg_hi:[0,1]
	v_pk_add_f32 v[110:111], v[110:111], v[136:137] neg_lo:[0,1] neg_hi:[0,1]
	v_pk_add_f32 v[16:17], v[106:107], v[16:17] op_sel:[0,1] op_sel_hi:[1,0] neg_lo:[0,1] neg_hi:[0,1]
	v_pk_add_f32 v[18:19], v[18:19], v[116:117] op_sel:[0,1] op_sel_hi:[1,0] neg_lo:[0,1] neg_hi:[0,1]
	ds_write2_b64 v0, v[174:175], v[176:177] offset1:3
	ds_write2_b64 v0, v[120:121], v[110:111] offset0:18 offset1:21
	ds_write2_b64 v0, v[16:17], v[18:19] offset0:24 offset1:27
	v_pk_add_f32 v[0:1], v[74:75], v[82:83] neg_lo:[0,1] neg_hi:[0,1]
	v_pk_add_f32 v[16:17], v[74:75], v[98:99] neg_lo:[0,1] neg_hi:[0,1]
	v_pk_add_f32 v[0:1], v[0:1], v[2:3]
	v_pk_add_f32 v[2:3], v[82:83], v[90:91]
	v_pk_mul_f32 v[18:19], v[16:17], s[6:7] op_sel_hi:[1,0]
	v_pk_fma_f32 v[2:3], v[2:3], 0.5, v[108:109] op_sel_hi:[1,0,1] neg_lo:[1,0,0] neg_hi:[1,0,0]
	v_pk_mul_f32 v[106:107], v[102:103], s[6:7] op_sel_hi:[1,0]
	v_pk_add_f32 v[94:95], v[2:3], v[18:19] op_sel:[0,1] op_sel_hi:[1,0]
	v_pk_add_f32 v[2:3], v[2:3], v[18:19] op_sel:[0,1] op_sel_hi:[1,0] neg_lo:[0,1] neg_hi:[0,1]
	v_pk_add_f32 v[18:19], v[82:83], v[90:91] neg_lo:[0,1] neg_hi:[0,1]
	v_add_lshl_u32 v20, v20, v105, 3
	v_pk_mul_f32 v[96:97], v[18:19], s[8:9] op_sel_hi:[1,0]
	v_pk_add_f32 v[104:105], v[108:109], v[74:75]
	v_pk_add_f32 v[2:3], v[2:3], v[96:97] op_sel:[0,1] op_sel_hi:[1,0] neg_lo:[0,1] neg_hi:[0,1]
	v_pk_add_f32 v[94:95], v[94:95], v[96:97] op_sel:[0,1] op_sel_hi:[1,0]
	v_pk_add_f32 v[96:97], v[66:67], v[68:69] neg_lo:[0,1] neg_hi:[0,1]
	v_pk_add_f32 v[104:105], v[104:105], v[82:83]
	v_pk_add_f32 v[96:97], v[96:97], v[100:101]
	;; [unrolled: 1-line block ×4, first 2 shown]
	v_pk_fma_f32 v[100:101], v[100:101], 0.5, v[64:65] op_sel_hi:[1,0,1] neg_lo:[1,0,0] neg_hi:[1,0,0]
	v_pk_add_f32 v[104:105], v[104:105], v[98:99]
	v_pk_add_f32 v[110:111], v[100:101], v[106:107] op_sel:[0,1] op_sel_hi:[1,0]
	v_pk_add_f32 v[100:101], v[100:101], v[106:107] op_sel:[0,1] op_sel_hi:[1,0] neg_lo:[0,1] neg_hi:[0,1]
	v_pk_add_f32 v[106:107], v[68:69], v[70:71] neg_lo:[0,1] neg_hi:[0,1]
	v_pk_mul_f32 v[18:19], v[18:19], s[6:7] op_sel_hi:[1,0]
	v_pk_mul_f32 v[116:117], v[106:107], s[8:9] op_sel_hi:[1,0]
	;; [unrolled: 1-line block ×3, first 2 shown]
	v_pk_add_f32 v[100:101], v[100:101], v[116:117] op_sel:[0,1] op_sel_hi:[1,0] neg_lo:[0,1] neg_hi:[0,1]
	v_pk_add_f32 v[110:111], v[110:111], v[116:117] op_sel:[0,1] op_sel_hi:[1,0]
	v_mov_b32_e32 v117, v101
	v_mov_b32_e32 v116, v110
	v_pk_fma_f32 v[116:117], v[96:97], s[12:13], v[116:117] op_sel_hi:[1,0,1]
	v_mov_b32_e32 v101, v111
	v_pk_mul_f32 v[118:119], v[116:117], s[8:9] op_sel_hi:[1,0]
	v_accvgpr_write_b32 a93, v20
	v_pk_fma_f32 v[120:121], v[116:117], s[14:15], v[118:119] op_sel:[0,0,1] op_sel_hi:[1,0,0]
	v_pk_fma_f32 v[116:117], v[116:117], s[14:15], v[118:119] op_sel:[0,0,1] op_sel_hi:[1,0,0] neg_lo:[0,0,1] neg_hi:[0,0,1]
	v_mov_b32_e32 v118, v94
	v_mov_b32_e32 v121, v117
	v_pk_add_f32 v[116:117], v[64:65], v[66:67]
	v_mov_b32_e32 v119, v3
	v_pk_add_f32 v[116:117], v[116:117], v[68:69]
	v_pk_fma_f32 v[118:119], v[0:1], s[12:13], v[118:119] op_sel_hi:[1,0,1]
	v_pk_add_f32 v[116:117], v[116:117], v[70:71]
	v_pk_add_f32 v[128:129], v[118:119], v[120:121]
	;; [unrolled: 1-line block ×3, first 2 shown]
	v_mov_b32_e32 v3, v95
	v_pk_add_f32 v[122:123], v[104:105], v[116:117]
	ds_write2_b64 v20, v[122:123], v[128:129] offset1:3
	v_pk_add_f32 v[122:123], v[74:75], v[98:99]
	v_pk_add_f32 v[74:75], v[82:83], v[74:75] neg_lo:[0,1] neg_hi:[0,1]
	v_pk_add_f32 v[82:83], v[90:91], v[98:99] neg_lo:[0,1] neg_hi:[0,1]
	v_pk_fma_f32 v[108:109], v[122:123], 0.5, v[108:109] op_sel_hi:[1,0,1] neg_lo:[1,0,0] neg_hi:[1,0,0]
	v_pk_add_f32 v[74:75], v[74:75], v[82:83]
	v_pk_add_f32 v[82:83], v[66:67], v[72:73]
	v_pk_add_f32 v[66:67], v[68:69], v[66:67] neg_lo:[0,1] neg_hi:[0,1]
	v_pk_add_f32 v[68:69], v[70:71], v[72:73] neg_lo:[0,1] neg_hi:[0,1]
	v_pk_fma_f32 v[64:65], v[82:83], 0.5, v[64:65] op_sel_hi:[1,0,1] neg_lo:[1,0,0] neg_hi:[1,0,0]
	v_pk_add_f32 v[66:67], v[66:67], v[68:69]
	v_pk_add_f32 v[68:69], v[108:109], v[18:19] op_sel:[0,1] op_sel_hi:[1,0] neg_lo:[0,1] neg_hi:[0,1]
	v_pk_add_f32 v[18:19], v[108:109], v[18:19] op_sel:[0,1] op_sel_hi:[1,0]
	v_pk_fma_f32 v[0:1], v[0:1], s[12:13], v[2:3] op_sel_hi:[1,0,1]
	v_pk_add_f32 v[18:19], v[18:19], v[16:17] op_sel:[0,1] op_sel_hi:[1,0] neg_lo:[0,1] neg_hi:[0,1]
	v_pk_add_f32 v[16:17], v[68:69], v[16:17] op_sel:[0,1] op_sel_hi:[1,0]
	v_pk_mul_f32 v[68:69], v[106:107], s[6:7] op_sel_hi:[1,0]
	v_pk_fma_f32 v[2:3], v[96:97], s[12:13], v[100:101] op_sel_hi:[1,0,1]
	v_pk_add_f32 v[70:71], v[64:65], v[68:69] op_sel:[0,1] op_sel_hi:[1,0] neg_lo:[0,1] neg_hi:[0,1]
	v_pk_add_f32 v[64:65], v[64:65], v[68:69] op_sel:[0,1] op_sel_hi:[1,0]
	v_pk_mul_f32 v[68:69], v[102:103], s[8:9] op_sel_hi:[1,0]
	v_mov_b32_e32 v51, v203
	v_pk_add_f32 v[64:65], v[64:65], v[68:69] op_sel:[0,1] op_sel_hi:[1,0] neg_lo:[0,1] neg_hi:[0,1]
	v_pk_add_f32 v[68:69], v[70:71], v[68:69] op_sel:[0,1] op_sel_hi:[1,0]
	v_mov_b32_e32 v71, v65
	v_mov_b32_e32 v70, v68
	v_pk_fma_f32 v[70:71], v[66:67], s[12:13], v[70:71] op_sel_hi:[1,0,1]
	v_mov_b32_e32 v65, v69
	v_pk_mul_f32 v[72:73], v[70:71], s[6:7] op_sel_hi:[1,0]
	v_pk_fma_f32 v[64:65], v[66:67], s[12:13], v[64:65] op_sel_hi:[1,0,1]
	v_pk_fma_f32 v[82:83], v[70:71], s[12:13], v[72:73] op_sel:[0,0,1] op_sel_hi:[1,0,0]
	v_pk_fma_f32 v[70:71], v[70:71], s[12:13], v[72:73] op_sel:[0,0,1] op_sel_hi:[1,0,0] neg_lo:[0,0,1] neg_hi:[0,0,1]
	v_pk_mul_f32 v[66:67], v[64:65], s[12:13] op_sel_hi:[1,0]
	v_mov_b32_e32 v83, v71
	v_mov_b32_e32 v70, v16
	;; [unrolled: 1-line block ×4, first 2 shown]
	v_pk_fma_f32 v[16:17], v[74:75], s[12:13], v[70:71] op_sel_hi:[1,0,1]
	v_pk_fma_f32 v[18:19], v[74:75], s[12:13], v[18:19] op_sel_hi:[1,0,1]
	v_pk_fma_f32 v[64:65], v[64:65], s[16:17], v[66:67] op_sel:[0,0,1] op_sel_hi:[1,1,0] neg_lo:[0,0,1] neg_hi:[0,0,1]
	v_pk_add_f32 v[66:67], v[16:17], v[82:83]
	v_pk_add_f32 v[68:69], v[18:19], v[64:65] op_sel:[0,1] op_sel_hi:[1,0]
	ds_write2_b64 v20, v[66:67], v[68:69] offset0:6 offset1:9
	v_pk_mul_f32 v[66:67], v[2:3], s[14:15] op_sel_hi:[1,0]
	v_pk_add_f32 v[16:17], v[16:17], v[82:83] neg_lo:[0,1] neg_hi:[0,1]
	v_pk_fma_f32 v[2:3], v[2:3], s[18:19], v[66:67] op_sel:[0,0,1] op_sel_hi:[1,1,0] neg_lo:[0,0,1] neg_hi:[0,0,1]
	v_pk_add_f32 v[66:67], v[104:105], v[116:117] neg_lo:[0,1] neg_hi:[0,1]
	v_pk_add_f32 v[68:69], v[0:1], v[2:3] op_sel:[0,1] op_sel_hi:[1,0]
	ds_write2_b64 v20, v[68:69], v[66:67] offset0:12 offset1:15
	v_pk_add_f32 v[66:67], v[118:119], v[120:121] neg_lo:[0,1] neg_hi:[0,1]
	ds_write2_b64 v20, v[66:67], v[16:17] offset0:18 offset1:21
	v_pk_add_f32 v[16:17], v[18:19], v[64:65] op_sel:[0,1] op_sel_hi:[1,0] neg_lo:[0,1] neg_hi:[0,1]
	v_pk_add_f32 v[0:1], v[0:1], v[2:3] op_sel:[0,1] op_sel_hi:[1,0] neg_lo:[0,1] neg_hi:[0,1]
	ds_write2_b64 v20, v[16:17], v[0:1] offset0:24 offset1:27
	v_pk_add_f32 v[0:1], v[34:35], v[36:37] neg_lo:[0,1] neg_hi:[0,1]
	v_pk_add_f32 v[2:3], v[54:55], v[38:39] neg_lo:[0,1] neg_hi:[0,1]
	v_pk_add_f32 v[16:17], v[32:33], v[14:15] neg_lo:[0,1] neg_hi:[0,1]
	v_pk_add_f32 v[0:1], v[0:1], v[2:3]
	v_pk_add_f32 v[2:3], v[4:5], v[6:7] neg_lo:[0,1] neg_hi:[0,1]
	v_pk_add_f32 v[64:65], v[8:9], v[34:35]
	v_pk_add_f32 v[2:3], v[2:3], v[16:17]
	v_mov_b32_e32 v16, v92
	v_mov_b32_e32 v17, v89
	v_pk_fma_f32 v[16:17], v[2:3], s[12:13], v[16:17] op_sel_hi:[1,0,1]
	v_pk_add_f32 v[66:67], v[12:13], v[4:5]
	v_pk_mul_f32 v[18:19], v[16:17], s[14:15] op_sel_hi:[1,0]
	v_pk_add_f32 v[64:65], v[64:65], v[36:37]
	v_pk_fma_f32 v[16:17], v[16:17], s[8:9], v[18:19] op_sel:[0,0,1] op_sel_hi:[1,1,0] neg_lo:[0,0,1] neg_hi:[0,0,1]
	v_mad_legacy_u16 v18, v57, 30, v59
	v_pk_add_f32 v[66:67], v[66:67], v[6:7]
	v_lshlrev_b32_e32 v20, 3, v18
	v_mov_b32_e32 v18, v86
	v_mov_b32_e32 v19, v85
	v_pk_add_f32 v[64:65], v[64:65], v[38:39]
	v_pk_add_f32 v[66:67], v[66:67], v[14:15]
	v_mov_b32_e32 v89, v93
	v_pk_fma_f32 v[18:19], v[0:1], s[12:13], v[18:19] op_sel_hi:[1,0,1]
	v_pk_add_f32 v[64:65], v[64:65], v[54:55]
	v_pk_add_f32 v[66:67], v[66:67], v[32:33]
	v_pk_fma_f32 v[2:3], v[2:3], s[12:13], v[88:89] op_sel_hi:[1,0,1]
	v_pk_add_f32 v[68:69], v[18:19], v[16:17]
	v_pk_add_f32 v[70:71], v[64:65], v[66:67] op_sel:[0,1] op_sel_hi:[1,0] neg_lo:[0,1] neg_hi:[0,1]
	v_pk_add_f32 v[64:65], v[64:65], v[66:67] op_sel:[0,1] op_sel_hi:[1,0]
	v_pk_mul_f32 v[66:67], v[2:3], s[8:9] op_sel_hi:[1,0]
	ds_write2_b64 v20, v[68:69], v[70:71] offset0:12 offset1:15
	v_mov_b32_e32 v85, v87
	v_pk_fma_f32 v[68:69], v[2:3], s[14:15], v[66:67] op_sel:[0,0,1] op_sel_hi:[1,0,0]
	v_pk_fma_f32 v[2:3], v[2:3], s[14:15], v[66:67] op_sel:[0,0,1] op_sel_hi:[1,0,0] neg_lo:[0,0,1] neg_hi:[0,0,1]
	v_pk_fma_f32 v[0:1], v[0:1], s[12:13], v[84:85] op_sel_hi:[1,0,1]
	v_mov_b32_e32 v66, v69
	v_mov_b32_e32 v67, v2
	v_pk_add_f32 v[2:3], v[0:1], v[66:67]
	ds_write2_b64 v20, v[64:65], v[2:3] offset1:3
	v_pk_add_f32 v[2:3], v[34:35], v[54:55]
	v_pk_add_f32 v[0:1], v[0:1], v[66:67] neg_lo:[0,1] neg_hi:[0,1]
	v_pk_fma_f32 v[2:3], v[2:3], 0.5, v[8:9] op_sel_hi:[1,0,1] neg_lo:[1,0,0] neg_hi:[1,0,0]
	v_pk_add_f32 v[8:9], v[36:37], v[34:35] neg_lo:[0,1] neg_hi:[0,1]
	v_pk_add_f32 v[36:37], v[4:5], v[32:33]
	v_pk_add_f32 v[4:5], v[6:7], v[4:5] neg_lo:[0,1] neg_hi:[0,1]
	v_pk_fma_f32 v[12:13], v[36:37], 0.5, v[12:13] op_sel_hi:[1,0,1] neg_lo:[1,0,0] neg_hi:[1,0,0]
	v_pk_add_f32 v[6:7], v[14:15], v[32:33] neg_lo:[0,1] neg_hi:[0,1]
	v_pk_add_f32 v[34:35], v[38:39], v[54:55] neg_lo:[0,1] neg_hi:[0,1]
	v_pk_add_f32 v[4:5], v[4:5], v[6:7]
	v_pk_fma_f32 v[6:7], v[78:79], s[6:7], v[12:13] op_sel:[1,0,0] op_sel_hi:[0,0,1] neg_lo:[1,0,0] neg_hi:[1,0,0]
	v_pk_fma_f32 v[12:13], v[78:79], s[6:7], v[12:13] op_sel:[1,0,0] op_sel_hi:[0,0,1]
	v_pk_fma_f32 v[12:13], v[10:11], s[8:9], v[12:13] op_sel:[1,0,0] op_sel_hi:[0,0,1] neg_lo:[1,0,0] neg_hi:[1,0,0]
	v_pk_fma_f32 v[6:7], v[10:11], s[8:9], v[6:7] op_sel:[1,0,0] op_sel_hi:[0,0,1]
	v_mov_b32_e32 v10, v6
	v_mov_b32_e32 v11, v13
	v_pk_add_f32 v[8:9], v[8:9], v[34:35]
	v_pk_fma_f32 v[34:35], v[80:81], s[6:7], v[2:3] op_sel:[1,0,0] op_sel_hi:[0,0,1]
	v_pk_fma_f32 v[2:3], v[80:81], s[6:7], v[2:3] op_sel:[1,0,0] op_sel_hi:[0,0,1] neg_lo:[1,0,0] neg_hi:[1,0,0]
	v_pk_fma_f32 v[10:11], v[4:5], s[12:13], v[10:11] op_sel_hi:[1,0,1]
	v_mov_b32_e32 v13, v7
	v_pk_fma_f32 v[2:3], v[76:77], s[8:9], v[2:3] op_sel:[1,0,0] op_sel_hi:[0,0,1]
	v_pk_fma_f32 v[34:35], v[76:77], s[8:9], v[34:35] op_sel:[1,0,0] op_sel_hi:[0,0,1] neg_lo:[1,0,0] neg_hi:[1,0,0]
	s_mov_b32 s7, s16
	v_pk_mul_f32 v[14:15], v[10:11], s[12:13] op_sel_hi:[1,0]
	v_pk_fma_f32 v[4:5], v[4:5], s[12:13], v[12:13] op_sel_hi:[1,0,1]
	v_pk_fma_f32 v[10:11], v[10:11], s[6:7], v[14:15] op_sel:[0,0,1] op_sel_hi:[1,1,0] neg_lo:[0,0,1] neg_hi:[0,0,1]
	v_mov_b32_e32 v14, v34
	v_mov_b32_e32 v15, v3
	;; [unrolled: 1-line block ×3, first 2 shown]
	v_pk_mul_f32 v[6:7], v[4:5], s[6:7] op_sel_hi:[1,0]
	v_pk_fma_f32 v[14:15], v[8:9], s[12:13], v[14:15] op_sel_hi:[1,0,1]
	v_pk_fma_f32 v[2:3], v[8:9], s[12:13], v[2:3] op_sel_hi:[1,0,1]
	v_pk_fma_f32 v[8:9], v[4:5], s[12:13], v[6:7] op_sel:[0,0,1] op_sel_hi:[1,0,0]
	v_pk_fma_f32 v[4:5], v[4:5], s[12:13], v[6:7] op_sel:[0,0,1] op_sel_hi:[1,0,0] neg_lo:[0,0,1] neg_hi:[0,0,1]
	v_mov_b32_e32 v6, v9
	v_mov_b32_e32 v7, v4
	v_pk_add_f32 v[8:9], v[2:3], v[6:7]
	v_pk_add_f32 v[2:3], v[2:3], v[6:7] neg_lo:[0,1] neg_hi:[0,1]
	ds_write2_b64 v20, v[0:1], v[2:3] offset0:18 offset1:21
	v_pk_add_f32 v[0:1], v[18:19], v[16:17] neg_lo:[0,1] neg_hi:[0,1]
	v_pk_add_f32 v[2:3], v[14:15], v[10:11] neg_lo:[0,1] neg_hi:[0,1]
	s_mov_b32 s15, 0x8889
	ds_write2_b64 v20, v[2:3], v[0:1] offset0:24 offset1:27
	v_mul_u32_u24_sdwa v0, v58, s15 dst_sel:DWORD dst_unused:UNUSED_PAD src0_sel:WORD_0 src1_sel:DWORD
	v_lshrrev_b32_e32 v43, 20, v0
	v_mul_lo_u16_e32 v0, 30, v43
	v_sub_u16_e32 v47, v58, v0
	v_mul_lo_u16_e32 v0, 0x48, v47
	v_mov_b32_e32 v1, v197
	v_pk_add_f32 v[4:5], v[14:15], v[10:11]
	v_lshl_add_u64 v[54:55], s[10:11], 0, v[0:1]
	ds_write2_b64 v20, v[8:9], v[4:5] offset0:6 offset1:9
	s_waitcnt lgkmcnt(0)
	s_barrier
	global_load_dwordx4 v[80:83], v[54:55], off offset:216
	s_movk_i32 s15, 0x89
	v_mul_lo_u16_sdwa v0, v56, s15 dst_sel:DWORD dst_unused:UNUSED_PAD src0_sel:BYTE_0 src1_sel:DWORD
	v_lshrrev_b16_e32 v27, 12, v0
	v_mul_lo_u16_e32 v0, 30, v27
	v_sub_u16_e32 v0, v56, v0
	v_and_b32_e32 v31, 0xff, v0
	v_mad_u64_u32 v[70:71], s[20:21], v31, s13, v[52:53]
	global_load_dwordx4 v[10:13], v[70:71], off offset:216
	global_load_dwordx4 v[32:35], v[54:55], off offset:232
	;; [unrolled: 1-line block ×3, first 2 shown]
	ds_read2_b64 v[0:3], v202 offset0:104 offset1:194
	global_load_dwordx4 v[76:79], v[70:71], off offset:248
	v_accvgpr_write_b32 a87, v20
	s_waitcnt vmcnt(4) lgkmcnt(0)
	v_pk_mul_f32 v[4:5], v[2:3], v[80:81] op_sel_hi:[1,0]
	v_mov_b32_e32 v6, v81
	v_pk_fma_f32 v[64:65], v[2:3], v[6:7], v[4:5] op_sel:[0,0,1] op_sel_hi:[1,1,0]
	v_pk_fma_f32 v[66:67], v[2:3], v[80:81], v[4:5] op_sel:[0,1,1] op_sel_hi:[1,1,0] neg_lo:[1,0,0] neg_hi:[1,0,0]
	v_mul_lo_u16_sdwa v2, v184, s15 dst_sel:DWORD dst_unused:UNUSED_PAD src0_sel:BYTE_0 src1_sel:DWORD
	v_lshrrev_b16_e32 v24, 12, v2
	v_mul_lo_u16_e32 v2, 30, v24
	v_sub_u16_e32 v2, v184, v2
	v_and_b32_e32 v25, 0xff, v2
	v_mad_u64_u32 v[2:3], s[20:21], v25, s13, v[52:53]
	ds_read2_b64 v[6:9], v211 offset0:132 offset1:222
	global_load_dwordx2 v[208:209], v[2:3], off offset:280
	global_load_dwordx4 v[92:95], v[54:55], off offset:248
	global_load_dwordx4 v[100:103], v[54:55], off offset:264
	;; [unrolled: 1-line block ×3, first 2 shown]
	s_waitcnt vmcnt(7)
	v_pk_mul_f32 v[4:5], v[0:1], v[10:11] op_sel:[0,1]
	v_mov_b64_e32 v[74:75], v[12:13]
	v_pk_fma_f32 v[122:123], v[0:1], v[10:11], v[4:5] op_sel:[0,0,1] op_sel_hi:[1,1,0] neg_lo:[0,0,1] neg_hi:[0,0,1]
	v_pk_fma_f32 v[20:21], v[0:1], v[10:11], v[4:5] op_sel:[0,0,1] op_sel_hi:[1,0,0]
	v_mov_b64_e32 v[72:73], v[10:11]
	s_waitcnt vmcnt(6) lgkmcnt(0)
	v_pk_mul_f32 v[10:11], v[8:9], v[32:33] op_sel_hi:[1,0]
	v_mov_b32_e32 v0, v33
	v_pk_fma_f32 v[4:5], v[8:9], v[0:1], v[10:11] op_sel:[0,0,1] op_sel_hi:[1,1,0]
	v_pk_fma_f32 v[84:85], v[8:9], v[32:33], v[10:11] op_sel:[0,1,1] op_sel_hi:[1,1,0] neg_lo:[1,0,0] neg_hi:[1,0,0]
	ds_read2_b64 v[10:13], v190 offset0:160 offset1:250
	s_waitcnt vmcnt(5)
	v_pk_mul_f32 v[8:9], v[6:7], v[36:37] op_sel:[0,1]
	v_accvgpr_write_b32 a92, v74
	v_pk_fma_f32 v[134:135], v[6:7], v[36:37], v[8:9] op_sel:[0,0,1] op_sel_hi:[1,1,0] neg_lo:[0,0,1] neg_hi:[0,0,1]
	v_pk_fma_f32 v[142:143], v[6:7], v[36:37], v[8:9] op_sel:[0,0,1] op_sel_hi:[1,0,0]
	v_accvgpr_write_b32 a102, v75
	v_accvgpr_write_b32 a91, v73
	;; [unrolled: 1-line block ×3, first 2 shown]
	v_mov_b64_e32 v[118:119], v[82:83]
	v_mov_b64_e32 v[116:117], v[80:81]
	v_accvgpr_write_b32 a74, v116
	v_accvgpr_write_b32 a110, v119
	;; [unrolled: 1-line block ×4, first 2 shown]
	v_mov_b32_e32 v123, v21
	v_mov_b32_e32 v135, v143
	v_mul_u32_u24_e32 v5, 0x12c, v27
	v_mov_b32_e32 v65, v67
	v_accvgpr_write_b32 a126, v35
	v_accvgpr_write_b32 a116, v39
	s_waitcnt vmcnt(4)
	v_accvgpr_write_b32 a134, v79
	s_waitcnt vmcnt(2) lgkmcnt(0)
	v_pk_mul_f32 v[8:9], v[12:13], v[92:93] op_sel_hi:[1,0]
	v_mov_b32_e32 v0, v93
	v_pk_fma_f32 v[6:7], v[12:13], v[0:1], v[8:9] op_sel:[0,0,1] op_sel_hi:[1,1,0]
	v_pk_fma_f32 v[86:87], v[12:13], v[92:93], v[8:9] op_sel:[0,1,1] op_sel_hi:[1,1,0] neg_lo:[1,0,0] neg_hi:[1,0,0]
	v_pk_mul_f32 v[12:13], v[10:11], v[76:77] op_sel:[0,1]
	s_waitcnt vmcnt(1)
	v_mov_b32_e32 v0, v101
	v_pk_fma_f32 v[8:9], v[10:11], v[76:77], v[12:13] op_sel:[0,0,1] op_sel_hi:[1,1,0] neg_lo:[0,0,1] neg_hi:[0,0,1]
	v_pk_fma_f32 v[144:145], v[10:11], v[76:77], v[12:13] op_sel:[0,0,1] op_sel_hi:[1,0,0]
	ds_read2_b64 v[10:13], v207 offset0:60 offset1:150
	v_mov_b32_e32 v9, v145
	v_mov_b32_e32 v7, v87
	v_accvgpr_write_b32 a166, v208
	v_accvgpr_write_b32 a144, v95
	s_waitcnt lgkmcnt(0)
	v_pk_mul_f32 v[14:15], v[12:13], v[100:101] op_sel_hi:[1,0]
	v_accvgpr_write_b32 a167, v209
	v_pk_fma_f32 v[68:69], v[12:13], v[0:1], v[14:15] op_sel:[0,0,1] op_sel_hi:[1,1,0]
	v_pk_fma_f32 v[98:99], v[12:13], v[100:101], v[14:15] op_sel:[0,1,1] op_sel_hi:[1,1,0] neg_lo:[1,0,0] neg_hi:[1,0,0]
	s_waitcnt vmcnt(0)
	v_pk_mul_f32 v[14:15], v[10:11], v[104:105] op_sel:[0,1]
	v_mov_b32_e32 v69, v99
	v_pk_fma_f32 v[12:13], v[10:11], v[104:105], v[14:15] op_sel:[0,0,1] op_sel_hi:[1,1,0] neg_lo:[0,0,1] neg_hi:[0,0,1]
	v_pk_fma_f32 v[148:149], v[10:11], v[104:105], v[14:15] op_sel:[0,0,1] op_sel_hi:[1,0,0]
	global_load_dwordx2 v[16:17], v[54:55], off offset:280
	global_load_dwordx2 v[14:15], v[70:71], off offset:280
	ds_read2_b64 v[52:55], v186 offset0:88 offset1:178
	v_mov_b32_e32 v13, v149
	s_waitcnt vmcnt(1) lgkmcnt(0)
	v_pk_mul_f32 v[10:11], v[54:55], v[16:17] op_sel_hi:[1,0]
	v_mov_b32_e32 v0, v17
	v_pk_fma_f32 v[70:71], v[54:55], v[0:1], v[10:11] op_sel:[0,0,1] op_sel_hi:[1,1,0]
	s_waitcnt vmcnt(0)
	v_mov_b64_e32 v[0:1], v[14:15]
	v_pk_fma_f32 v[108:109], v[54:55], v[16:17], v[10:11] op_sel:[0,1,1] op_sel_hi:[1,1,0] neg_lo:[1,0,0] neg_hi:[1,0,0]
	v_accvgpr_write_b32 a193, v17
	v_pk_mul_f32 v[10:11], v[52:53], v[0:1] op_sel:[0,1]
	v_accvgpr_write_b32 a192, v16
	v_pk_fma_f32 v[14:15], v[52:53], v[0:1], v[10:11] op_sel:[0,0,1] op_sel_hi:[1,1,0] neg_lo:[0,0,1] neg_hi:[0,0,1]
	v_pk_fma_f32 v[16:17], v[52:53], v[0:1], v[10:11] op_sel:[0,0,1] op_sel_hi:[1,0,0]
	ds_read2_b64 v[52:55], v189 offset0:28 offset1:118
	v_accvgpr_write_b32 a169, v1
	v_accvgpr_write_b32 a168, v0
	v_mov_b32_e32 v0, v75
	v_mov_b32_e32 v15, v17
	s_waitcnt lgkmcnt(0)
	v_pk_mul_f32 v[10:11], v[54:55], v[0:1] op_sel_hi:[1,0]
	v_pk_add_f32 v[142:143], v[14:15], v[12:13] neg_lo:[0,1] neg_hi:[0,1]
	v_pk_fma_f32 v[138:139], v[54:55], v[74:75], v[10:11] op_sel:[0,0,1] op_sel_hi:[1,1,0] neg_lo:[0,0,1] neg_hi:[0,0,1]
	v_pk_fma_f32 v[150:151], v[54:55], v[74:75], v[10:11] op_sel:[0,0,1] op_sel_hi:[1,0,0]
	global_load_dwordx4 v[72:75], v[2:3], off offset:216
	global_load_dwordx4 v[88:91], v[2:3], off offset:232
	v_mov_b32_e32 v139, v151
	v_pk_add_f32 v[144:145], v[134:135], v[14:15] neg_lo:[0,1] neg_hi:[0,1]
	v_mov_b32_e32 v71, v109
	v_pk_mul_f32 v[148:149], v[144:145], s[6:7] op_sel_hi:[1,0]
	s_waitcnt vmcnt(1)
	v_mov_b32_e32 v0, v75
	v_pk_mul_f32 v[10:11], v[52:53], v[0:1] op_sel_hi:[1,0]
	v_mov_b32_e32 v0, v119
	v_pk_fma_f32 v[164:165], v[52:53], v[74:75], v[10:11] op_sel:[0,0,1] op_sel_hi:[1,1,0] neg_lo:[0,0,1] neg_hi:[0,0,1]
	v_pk_fma_f32 v[156:157], v[52:53], v[74:75], v[10:11] op_sel:[0,0,1] op_sel_hi:[1,0,0]
	ds_read2_b64 v[52:55], v188 offset0:80 offset1:170
	v_mov_b32_e32 v165, v157
	s_waitcnt vmcnt(0)
	v_accvgpr_write_b32 a118, v91
	v_accvgpr_write_b32 a104, v75
	s_waitcnt lgkmcnt(0)
	v_pk_mul_f32 v[10:11], v[52:53], v[0:1] op_sel_hi:[1,0]
	s_nop 0
	v_pk_fma_f32 v[80:81], v[52:53], v[118:119], v[10:11] op_sel:[0,0,1] op_sel_hi:[1,1,0] neg_lo:[0,0,1] neg_hi:[0,0,1]
	v_pk_fma_f32 v[120:121], v[52:53], v[118:119], v[10:11] op_sel:[0,0,1] op_sel_hi:[1,0,0]
	v_pk_mul_f32 v[10:11], v[54:55], v[88:89] op_sel:[0,1]
	v_mov_b32_e32 v0, v39
	v_pk_fma_f32 v[166:167], v[54:55], v[88:89], v[10:11] op_sel:[0,0,1] op_sel_hi:[1,1,0] neg_lo:[0,0,1] neg_hi:[0,0,1]
	v_pk_fma_f32 v[158:159], v[54:55], v[88:89], v[10:11] op_sel:[0,0,1] op_sel_hi:[1,0,0]
	ds_read2_b64 v[52:55], v205 offset0:56 offset1:146
	v_mov_b32_e32 v167, v159
	v_mov_b32_e32 v81, v121
	s_waitcnt lgkmcnt(0)
	v_pk_mul_f32 v[10:11], v[54:55], v[0:1] op_sel_hi:[1,0]
	v_mov_b32_e32 v0, v91
	v_pk_fma_f32 v[140:141], v[54:55], v[38:39], v[10:11] op_sel:[0,0,1] op_sel_hi:[1,1,0] neg_lo:[0,0,1] neg_hi:[0,0,1]
	v_pk_fma_f32 v[168:169], v[54:55], v[38:39], v[10:11] op_sel:[0,0,1] op_sel_hi:[1,0,0]
	v_pk_mul_f32 v[10:11], v[52:53], v[0:1] op_sel_hi:[1,0]
	v_mov_b32_e32 v0, v35
	v_pk_fma_f32 v[170:171], v[52:53], v[90:91], v[10:11] op_sel:[0,0,1] op_sel_hi:[1,1,0] neg_lo:[0,0,1] neg_hi:[0,0,1]
	v_pk_fma_f32 v[172:173], v[52:53], v[90:91], v[10:11] op_sel:[0,0,1] op_sel_hi:[1,0,0]
	ds_read2_b64 v[52:55], v194 offset0:108 offset1:198
	global_load_dwordx4 v[116:119], v[2:3], off offset:248
	global_load_dwordx4 v[128:131], v[2:3], off offset:264
	ds_read2_b64 v[156:159], v196 offset1:90
	v_mov_b32_e32 v171, v173
	v_mov_b32_e32 v141, v169
	s_waitcnt lgkmcnt(1)
	v_pk_mul_f32 v[10:11], v[52:53], v[0:1] op_sel_hi:[1,0]
	v_mov_b32_e32 v0, v79
	v_pk_fma_f32 v[82:83], v[52:53], v[34:35], v[10:11] op_sel:[0,0,1] op_sel_hi:[1,1,0] neg_lo:[0,0,1] neg_hi:[0,0,1]
	v_pk_fma_f32 v[132:133], v[52:53], v[34:35], v[10:11] op_sel:[0,0,1] op_sel_hi:[1,0,0]
	v_add_lshl_u32 v91, v5, v31, 3
	v_add_u32_e32 v5, 0x400, v91
	v_mov_b32_e32 v83, v133
	v_accvgpr_write_b32 a89, v5
	v_lshlrev_b32_e32 v132, 4, v56
	v_mov_b32_e32 v133, v197
	s_waitcnt vmcnt(1)
	v_pk_mul_f32 v[2:3], v[54:55], v[116:117] op_sel:[0,1]
	s_nop 0
	v_pk_fma_f32 v[174:175], v[54:55], v[116:117], v[2:3] op_sel:[0,0,1] op_sel_hi:[1,1,0] neg_lo:[0,0,1] neg_hi:[0,0,1]
	v_pk_fma_f32 v[176:177], v[54:55], v[116:117], v[2:3] op_sel:[0,0,1] op_sel_hi:[1,0,0]
	ds_read2_b64 v[52:55], v195 offset0:84 offset1:174
	v_mov_b32_e32 v175, v177
	v_accvgpr_write_b32 a138, v119
	s_waitcnt vmcnt(0)
	v_accvgpr_write_b32 a158, v131
	s_waitcnt lgkmcnt(0)
	v_pk_mul_f32 v[10:11], v[54:55], v[0:1] op_sel_hi:[1,0]
	v_mov_b32_e32 v0, v119
	v_pk_fma_f32 v[2:3], v[54:55], v[78:79], v[10:11] op_sel:[0,0,1] op_sel_hi:[1,1,0] neg_lo:[0,0,1] neg_hi:[0,0,1]
	v_pk_fma_f32 v[192:193], v[54:55], v[78:79], v[10:11] op_sel:[0,0,1] op_sel_hi:[1,0,0]
	v_pk_mul_f32 v[10:11], v[52:53], v[0:1] op_sel_hi:[1,0]
	v_mov_b32_e32 v0, v95
	v_pk_fma_f32 v[216:217], v[52:53], v[118:119], v[10:11] op_sel:[0,0,1] op_sel_hi:[1,1,0] neg_lo:[0,0,1] neg_hi:[0,0,1]
	v_pk_fma_f32 v[218:219], v[52:53], v[118:119], v[10:11] op_sel:[0,0,1] op_sel_hi:[1,0,0]
	ds_read2_b64 v[52:55], v204 offset0:8 offset1:98
	v_mov_b32_e32 v217, v219
	v_mul_u32_u24_e32 v3, 0x12c, v24
	v_add_lshl_u32 v119, v3, v25, 3
	v_mov_b32_e32 v3, v193
	s_waitcnt lgkmcnt(0)
	v_pk_mul_f32 v[10:11], v[52:53], v[0:1] op_sel_hi:[1,0]
	v_mov_b32_e32 v0, v107
	v_pk_fma_f32 v[96:97], v[52:53], v[94:95], v[10:11] op_sel:[0,0,1] op_sel_hi:[1,1,0] neg_lo:[0,0,1] neg_hi:[0,0,1]
	v_pk_fma_f32 v[22:23], v[52:53], v[94:95], v[10:11] op_sel:[0,0,1] op_sel_hi:[1,0,0]
	v_pk_mul_f32 v[52:53], v[54:55], v[128:129] op_sel:[0,1]
	v_mov_b32_e32 v97, v23
	v_pk_fma_f32 v[248:249], v[54:55], v[128:129], v[52:53] op_sel:[0,0,1] op_sel_hi:[1,1,0] neg_lo:[0,0,1] neg_hi:[0,0,1]
	v_pk_fma_f32 v[250:251], v[54:55], v[128:129], v[52:53] op_sel:[0,0,1] op_sel_hi:[1,0,0]
	ds_read2_b64 v[52:55], v206 offset0:112 offset1:202
	v_mov_b32_e32 v249, v251
	v_mov_b32_e32 v79, v195
	;; [unrolled: 1-line block ×3, first 2 shown]
	s_waitcnt lgkmcnt(0)
	v_pk_mul_f32 v[110:111], v[54:55], v[0:1] op_sel_hi:[1,0]
	v_mov_b32_e32 v0, v131
	v_pk_fma_f32 v[146:147], v[54:55], v[106:107], v[110:111] op_sel:[0,0,1] op_sel_hi:[1,1,0] neg_lo:[0,0,1] neg_hi:[0,0,1]
	v_pk_fma_f32 v[252:253], v[54:55], v[106:107], v[110:111] op_sel:[0,0,1] op_sel_hi:[1,0,0]
	v_pk_mul_f32 v[54:55], v[52:53], v[0:1] op_sel_hi:[1,0]
	v_mov_b32_e32 v0, v103
	v_pk_fma_f32 v[254:255], v[52:53], v[130:131], v[54:55] op_sel:[0,0,1] op_sel_hi:[1,1,0] neg_lo:[0,0,1] neg_hi:[0,0,1]
	v_pk_fma_f32 v[18:19], v[52:53], v[130:131], v[54:55] op_sel:[0,0,1] op_sel_hi:[1,0,0]
	ds_read2_b64 v[52:55], v191 offset0:36 offset1:126
	v_mov_b32_e32 v255, v19
	v_pk_add_f32 v[18:19], v[164:165], v[170:171] neg_lo:[0,1] neg_hi:[0,1]
	v_pk_add_f32 v[172:173], v[164:165], v[254:255] neg_lo:[0,1] neg_hi:[0,1]
	v_add_u32_e32 v131, 0x400, v119
	s_waitcnt lgkmcnt(0)
	v_pk_mul_f32 v[136:137], v[52:53], v[0:1] op_sel_hi:[1,0]
	v_pk_mul_f32 v[176:177], v[172:173], s[6:7] op_sel_hi:[1,0]
	v_pk_fma_f32 v[110:111], v[52:53], v[102:103], v[136:137] op_sel:[0,0,1] op_sel_hi:[1,1,0] neg_lo:[0,0,1] neg_hi:[0,0,1]
	v_pk_fma_f32 v[136:137], v[52:53], v[102:103], v[136:137] op_sel:[0,0,1] op_sel_hi:[1,0,0]
	v_pk_mul_f32 v[52:53], v[54:55], v[208:209] op_sel:[0,1]
	v_mov_b32_e32 v147, v253
	v_pk_fma_f32 v[0:1], v[54:55], v[208:209], v[52:53] op_sel:[0,0,1] op_sel_hi:[1,1,0] neg_lo:[0,0,1] neg_hi:[0,0,1]
	v_pk_fma_f32 v[228:229], v[54:55], v[208:209], v[52:53] op_sel:[0,0,1] op_sel_hi:[1,0,0]
	ds_read2_b64 v[52:55], v210 offset0:52 offset1:142
	v_mov_b32_e32 v1, v229
	v_pk_add_f32 v[250:251], v[166:167], v[0:1] neg_lo:[0,1] neg_hi:[0,1]
	s_waitcnt lgkmcnt(0)
	v_pk_mul_f32 v[234:235], v[250:251], s[6:7] op_sel_hi:[1,0]
	v_pk_mul_f32 v[230:231], v[54:55], v[72:73] op_sel:[0,1]
	s_barrier
	v_pk_fma_f32 v[232:233], v[54:55], v[72:73], v[230:231] op_sel:[0,0,1] op_sel_hi:[1,1,0] neg_lo:[0,0,1] neg_hi:[0,0,1]
	v_pk_fma_f32 v[54:55], v[54:55], v[72:73], v[230:231] op_sel:[0,0,1] op_sel_hi:[1,0,0]
	v_pk_add_f32 v[230:231], v[0:1], v[248:249] neg_lo:[0,1] neg_hi:[0,1]
	v_mov_b32_e32 v233, v55
	v_pk_add_f32 v[54:55], v[254:255], v[216:217] neg_lo:[0,1] neg_hi:[0,1]
	s_nop 0
	v_pk_add_f32 v[18:19], v[18:19], v[54:55]
	v_pk_add_f32 v[54:55], v[170:171], v[216:217]
	v_pk_add_f32 v[16:17], v[138:139], v[146:147] neg_lo:[0,1] neg_hi:[0,1]
	v_pk_fma_f32 v[54:55], v[54:55], 0.5, v[156:157] op_sel_hi:[1,0,1] neg_lo:[1,0,0] neg_hi:[1,0,0]
	v_mov_b32_e32 v111, v137
	v_pk_add_f32 v[218:219], v[54:55], v[176:177] op_sel:[0,1] op_sel_hi:[1,0]
	v_pk_add_f32 v[54:55], v[54:55], v[176:177] op_sel:[0,1] op_sel_hi:[1,0] neg_lo:[0,1] neg_hi:[0,1]
	v_pk_add_f32 v[176:177], v[170:171], v[216:217] neg_lo:[0,1] neg_hi:[0,1]
	s_nop 0
	v_pk_mul_f32 v[228:229], v[176:177], s[8:9] op_sel_hi:[1,0]
	s_nop 0
	v_pk_add_f32 v[54:55], v[54:55], v[228:229] op_sel:[0,1] op_sel_hi:[1,0] neg_lo:[0,1] neg_hi:[0,1]
	v_pk_add_f32 v[10:11], v[218:219], v[228:229] op_sel:[0,1] op_sel_hi:[1,0]
	v_pk_add_f32 v[228:229], v[166:167], v[174:175] neg_lo:[0,1] neg_hi:[0,1]
	v_mov_b32_e32 v218, v10
	v_pk_add_f32 v[228:229], v[228:229], v[230:231]
	v_pk_add_f32 v[230:231], v[174:175], v[248:249]
	v_mov_b32_e32 v219, v55
	v_pk_fma_f32 v[230:231], v[230:231], 0.5, v[232:233] op_sel_hi:[1,0,1] neg_lo:[1,0,0] neg_hi:[1,0,0]
	v_pk_fma_f32 v[218:219], v[18:19], s[12:13], v[218:219] op_sel_hi:[1,0,1]
	v_pk_add_f32 v[236:237], v[230:231], v[234:235] op_sel:[0,1] op_sel_hi:[1,0]
	v_pk_add_f32 v[230:231], v[230:231], v[234:235] op_sel:[0,1] op_sel_hi:[1,0] neg_lo:[0,1] neg_hi:[0,1]
	v_pk_add_f32 v[234:235], v[174:175], v[248:249] neg_lo:[0,1] neg_hi:[0,1]
	v_mov_b32_e32 v55, v11
	v_pk_mul_f32 v[238:239], v[234:235], s[8:9] op_sel_hi:[1,0]
	v_pk_fma_f32 v[10:11], v[18:19], s[12:13], v[54:55] op_sel_hi:[1,0,1]
	v_pk_add_f32 v[230:231], v[230:231], v[238:239] op_sel:[0,1] op_sel_hi:[1,0] neg_lo:[0,1] neg_hi:[0,1]
	v_pk_add_f32 v[236:237], v[236:237], v[238:239] op_sel:[0,1] op_sel_hi:[1,0]
	v_mov_b32_e32 v239, v231
	v_mov_b32_e32 v238, v236
	v_pk_fma_f32 v[238:239], v[228:229], s[12:13], v[238:239] op_sel_hi:[1,0,1]
	v_mov_b32_e32 v231, v237
	v_pk_mul_f32 v[240:241], v[238:239], s[8:9] op_sel_hi:[1,0]
	v_pk_fma_f32 v[18:19], v[228:229], s[12:13], v[230:231] op_sel_hi:[1,0,1]
	v_pk_fma_f32 v[242:243], v[238:239], s[14:15], v[240:241] op_sel:[0,0,1] op_sel_hi:[1,0,0]
	v_pk_fma_f32 v[238:239], v[238:239], s[14:15], v[240:241] op_sel:[0,0,1] op_sel_hi:[1,0,0] neg_lo:[0,0,1] neg_hi:[0,0,1]
	v_pk_add_f32 v[240:241], v[232:233], v[166:167]
	v_mov_b32_e32 v243, v239
	v_pk_add_f32 v[238:239], v[156:157], v[164:165]
	v_pk_add_f32 v[240:241], v[240:241], v[174:175]
	;; [unrolled: 1-line block ×9, first 2 shown]
	ds_write2_b64 v119, v[224:225], v[186:187] offset1:30
	v_pk_add_f32 v[170:171], v[170:171], v[164:165] neg_lo:[0,1] neg_hi:[0,1]
	v_pk_add_f32 v[164:165], v[164:165], v[254:255]
	v_pk_add_f32 v[186:187], v[216:217], v[254:255] neg_lo:[0,1] neg_hi:[0,1]
	v_pk_fma_f32 v[156:157], v[164:165], 0.5, v[156:157] op_sel_hi:[1,0,1] neg_lo:[1,0,0] neg_hi:[1,0,0]
	v_pk_add_f32 v[170:171], v[170:171], v[186:187]
	v_pk_add_f32 v[186:187], v[166:167], v[0:1]
	v_pk_add_f32 v[166:167], v[174:175], v[166:167] neg_lo:[0,1] neg_hi:[0,1]
	v_pk_add_f32 v[0:1], v[248:249], v[0:1] neg_lo:[0,1] neg_hi:[0,1]
	v_pk_mul_f32 v[164:165], v[176:177], s[6:7] op_sel_hi:[1,0]
	v_pk_add_f32 v[0:1], v[166:167], v[0:1]
	v_pk_add_f32 v[166:167], v[156:157], v[164:165] op_sel:[0,1] op_sel_hi:[1,0] neg_lo:[0,1] neg_hi:[0,1]
	v_pk_add_f32 v[156:157], v[156:157], v[164:165] op_sel:[0,1] op_sel_hi:[1,0]
	v_pk_mul_f32 v[164:165], v[172:173], s[8:9] op_sel_hi:[1,0]
	v_pk_fma_f32 v[186:187], v[186:187], 0.5, v[232:233] op_sel_hi:[1,0,1] neg_lo:[1,0,0] neg_hi:[1,0,0]
	v_pk_add_f32 v[156:157], v[156:157], v[164:165] op_sel:[0,1] op_sel_hi:[1,0] neg_lo:[0,1] neg_hi:[0,1]
	v_pk_add_f32 v[164:165], v[166:167], v[164:165] op_sel:[0,1] op_sel_hi:[1,0]
	v_pk_mul_f32 v[166:167], v[234:235], s[6:7] op_sel_hi:[1,0]
	v_pk_mul_f32 v[174:175], v[250:251], s[8:9] op_sel_hi:[1,0]
	v_pk_add_f32 v[172:173], v[186:187], v[166:167] op_sel:[0,1] op_sel_hi:[1,0] neg_lo:[0,1] neg_hi:[0,1]
	v_pk_add_f32 v[166:167], v[186:187], v[166:167] op_sel:[0,1] op_sel_hi:[1,0]
	v_pk_add_f32 v[172:173], v[172:173], v[174:175] op_sel:[0,1] op_sel_hi:[1,0]
	v_pk_add_f32 v[166:167], v[166:167], v[174:175] op_sel:[0,1] op_sel_hi:[1,0] neg_lo:[0,1] neg_hi:[0,1]
	v_mov_b32_e32 v174, v172
	v_mov_b32_e32 v175, v167
	v_pk_fma_f32 v[174:175], v[0:1], s[12:13], v[174:175] op_sel_hi:[1,0,1]
	v_mov_b32_e32 v167, v173
	v_pk_mul_f32 v[176:177], v[174:175], s[6:7] op_sel_hi:[1,0]
	v_pk_fma_f32 v[0:1], v[0:1], s[12:13], v[166:167] op_sel_hi:[1,0,1]
	v_pk_fma_f32 v[186:187], v[174:175], s[12:13], v[176:177] op_sel:[0,0,1] op_sel_hi:[1,0,0]
	v_pk_fma_f32 v[174:175], v[174:175], s[12:13], v[176:177] op_sel:[0,0,1] op_sel_hi:[1,0,0] neg_lo:[0,0,1] neg_hi:[0,0,1]
	v_pk_mul_f32 v[166:167], v[0:1], s[12:13] op_sel_hi:[1,0]
	v_mov_b32_e32 v187, v175
	v_mov_b32_e32 v174, v164
	;; [unrolled: 1-line block ×4, first 2 shown]
	v_pk_fma_f32 v[164:165], v[170:171], s[12:13], v[174:175] op_sel_hi:[1,0,1]
	v_pk_fma_f32 v[156:157], v[170:171], s[12:13], v[156:157] op_sel_hi:[1,0,1]
	v_pk_fma_f32 v[0:1], v[0:1], s[16:17], v[166:167] op_sel:[0,0,1] op_sel_hi:[1,1,0] neg_lo:[0,0,1] neg_hi:[0,0,1]
	v_pk_mul_f32 v[54:55], v[18:19], s[14:15] op_sel_hi:[1,0]
	v_pk_add_f32 v[166:167], v[164:165], v[186:187]
	v_pk_add_f32 v[170:171], v[156:157], v[0:1] op_sel:[0,1] op_sel_hi:[1,0]
	v_pk_fma_f32 v[18:19], v[18:19], s[18:19], v[54:55] op_sel:[0,0,1] op_sel_hi:[1,1,0] neg_lo:[0,0,1] neg_hi:[0,0,1]
	ds_write2_b64 v119, v[166:167], v[170:171] offset0:60 offset1:90
	v_pk_add_f32 v[166:167], v[10:11], v[18:19] op_sel:[0,1] op_sel_hi:[1,0]
	v_pk_add_f32 v[0:1], v[156:157], v[0:1] op_sel:[0,1] op_sel_hi:[1,0] neg_lo:[0,1] neg_hi:[0,1]
	v_pk_add_f32 v[10:11], v[10:11], v[18:19] op_sel:[0,1] op_sel_hi:[1,0] neg_lo:[0,1] neg_hi:[0,1]
	ds_write2_b64 v131, v[0:1], v[10:11] offset0:112 offset1:142
	v_pk_add_f32 v[0:1], v[138:139], v[140:141] neg_lo:[0,1] neg_hi:[0,1]
	v_pk_add_f32 v[10:11], v[146:147], v[2:3] neg_lo:[0,1] neg_hi:[0,1]
	;; [unrolled: 1-line block ×3, first 2 shown]
	v_pk_add_f32 v[0:1], v[0:1], v[10:11]
	v_pk_add_f32 v[10:11], v[140:141], v[2:3]
	v_pk_mul_f32 v[18:19], v[16:17], s[6:7] op_sel_hi:[1,0]
	v_pk_fma_f32 v[10:11], v[10:11], 0.5, v[158:159] op_sel_hi:[1,0,1] neg_lo:[1,0,0] neg_hi:[1,0,0]
	ds_write2_b64 v119, v[166:167], v[54:55] offset0:120 offset1:150
	v_pk_add_f32 v[54:55], v[218:219], v[242:243] neg_lo:[0,1] neg_hi:[0,1]
	v_pk_add_f32 v[164:165], v[164:165], v[186:187] neg_lo:[0,1] neg_hi:[0,1]
	v_pk_add_f32 v[20:21], v[10:11], v[18:19] op_sel:[0,1] op_sel_hi:[1,0]
	v_pk_add_f32 v[10:11], v[10:11], v[18:19] op_sel:[0,1] op_sel_hi:[1,0] neg_lo:[0,1] neg_hi:[0,1]
	v_pk_add_f32 v[18:19], v[140:141], v[2:3] neg_lo:[0,1] neg_hi:[0,1]
	ds_write2_b64 v119, v[54:55], v[164:165] offset0:180 offset1:210
	v_pk_mul_f32 v[54:55], v[18:19], s[8:9] op_sel_hi:[1,0]
	v_pk_mul_f32 v[16:17], v[16:17], s[8:9] op_sel_hi:[1,0]
	v_pk_add_f32 v[10:11], v[10:11], v[54:55] op_sel:[0,1] op_sel_hi:[1,0] neg_lo:[0,1] neg_hi:[0,1]
	v_pk_add_f32 v[20:21], v[20:21], v[54:55] op_sel:[0,1] op_sel_hi:[1,0]
	v_pk_add_f32 v[54:55], v[134:135], v[8:9] neg_lo:[0,1] neg_hi:[0,1]
	v_mov_b32_e32 v168, v20
	v_pk_add_f32 v[54:55], v[54:55], v[142:143]
	v_pk_add_f32 v[142:143], v[8:9], v[12:13]
	v_mov_b32_e32 v169, v11
	v_pk_fma_f32 v[142:143], v[142:143], 0.5, v[122:123] op_sel_hi:[1,0,1] neg_lo:[1,0,0] neg_hi:[1,0,0]
	v_pk_fma_f32 v[168:169], v[0:1], s[12:13], v[168:169] op_sel_hi:[1,0,1]
	v_pk_add_f32 v[150:151], v[142:143], v[148:149] op_sel:[0,1] op_sel_hi:[1,0]
	v_pk_add_f32 v[142:143], v[142:143], v[148:149] op_sel:[0,1] op_sel_hi:[1,0] neg_lo:[0,1] neg_hi:[0,1]
	v_pk_add_f32 v[148:149], v[8:9], v[12:13] neg_lo:[0,1] neg_hi:[0,1]
	v_mov_b32_e32 v11, v21
	v_pk_mul_f32 v[156:157], v[148:149], s[8:9] op_sel_hi:[1,0]
	v_pk_fma_f32 v[0:1], v[0:1], s[12:13], v[10:11] op_sel_hi:[1,0,1]
	v_pk_add_f32 v[142:143], v[142:143], v[156:157] op_sel:[0,1] op_sel_hi:[1,0] neg_lo:[0,1] neg_hi:[0,1]
	v_pk_add_f32 v[150:151], v[150:151], v[156:157] op_sel:[0,1] op_sel_hi:[1,0]
	v_mov_b32_e32 v157, v143
	v_mov_b32_e32 v156, v150
	v_pk_fma_f32 v[156:157], v[54:55], s[12:13], v[156:157] op_sel_hi:[1,0,1]
	v_mov_b32_e32 v143, v151
	v_pk_mul_f32 v[164:165], v[156:157], s[8:9] op_sel_hi:[1,0]
	v_pk_fma_f32 v[10:11], v[54:55], s[12:13], v[142:143] op_sel_hi:[1,0,1]
	v_pk_fma_f32 v[166:167], v[156:157], s[14:15], v[164:165] op_sel:[0,0,1] op_sel_hi:[1,0,0]
	v_pk_fma_f32 v[156:157], v[156:157], s[14:15], v[164:165] op_sel:[0,0,1] op_sel_hi:[1,0,0] neg_lo:[0,0,1] neg_hi:[0,0,1]
	v_pk_add_f32 v[164:165], v[122:123], v[134:135]
	v_mov_b32_e32 v167, v157
	v_pk_add_f32 v[156:157], v[158:159], v[138:139]
	v_pk_add_f32 v[164:165], v[164:165], v[8:9]
	;; [unrolled: 1-line block ×9, first 2 shown]
	ds_write2_b64 v91, v[170:171], v[172:173] offset1:30
	v_pk_add_f32 v[170:171], v[138:139], v[146:147]
	v_pk_add_f32 v[8:9], v[8:9], v[134:135] neg_lo:[0,1] neg_hi:[0,1]
	v_pk_add_f32 v[12:13], v[12:13], v[14:15] neg_lo:[0,1] neg_hi:[0,1]
	v_pk_fma_f32 v[158:159], v[170:171], 0.5, v[158:159] op_sel_hi:[1,0,1] neg_lo:[1,0,0] neg_hi:[1,0,0]
	v_pk_add_f32 v[138:139], v[140:141], v[138:139] neg_lo:[0,1] neg_hi:[0,1]
	v_pk_add_f32 v[2:3], v[2:3], v[146:147] neg_lo:[0,1] neg_hi:[0,1]
	v_pk_add_f32 v[8:9], v[8:9], v[12:13]
	v_pk_mul_f32 v[12:13], v[18:19], s[6:7] op_sel_hi:[1,0]
	v_pk_add_f32 v[2:3], v[138:139], v[2:3]
	v_pk_add_f32 v[138:139], v[134:135], v[14:15]
	v_pk_add_f32 v[14:15], v[158:159], v[12:13] op_sel:[0,1] op_sel_hi:[1,0] neg_lo:[0,1] neg_hi:[0,1]
	v_pk_add_f32 v[12:13], v[158:159], v[12:13] op_sel:[0,1] op_sel_hi:[1,0]
	v_pk_fma_f32 v[122:123], v[138:139], 0.5, v[122:123] op_sel_hi:[1,0,1] neg_lo:[1,0,0] neg_hi:[1,0,0]
	v_pk_add_f32 v[12:13], v[12:13], v[16:17] op_sel:[0,1] op_sel_hi:[1,0] neg_lo:[0,1] neg_hi:[0,1]
	v_pk_add_f32 v[14:15], v[14:15], v[16:17] op_sel:[0,1] op_sel_hi:[1,0]
	v_pk_mul_f32 v[16:17], v[148:149], s[6:7] op_sel_hi:[1,0]
	v_pk_add_f32 v[20:21], v[80:81], v[110:111] neg_lo:[0,1] neg_hi:[0,1]
	v_pk_add_f32 v[18:19], v[122:123], v[16:17] op_sel:[0,1] op_sel_hi:[1,0] neg_lo:[0,1] neg_hi:[0,1]
	v_pk_add_f32 v[16:17], v[122:123], v[16:17] op_sel:[0,1] op_sel_hi:[1,0]
	v_pk_mul_f32 v[122:123], v[144:145], s[8:9] op_sel_hi:[1,0]
	v_pk_add_f32 v[54:55], v[82:83], v[96:97] neg_lo:[0,1] neg_hi:[0,1]
	v_pk_add_f32 v[16:17], v[16:17], v[122:123] op_sel:[0,1] op_sel_hi:[1,0] neg_lo:[0,1] neg_hi:[0,1]
	v_pk_add_f32 v[18:19], v[18:19], v[122:123] op_sel:[0,1] op_sel_hi:[1,0]
	v_mov_b32_e32 v123, v17
	v_mov_b32_e32 v122, v18
	v_pk_fma_f32 v[122:123], v[8:9], s[12:13], v[122:123] op_sel_hi:[1,0,1]
	v_mov_b32_e32 v17, v19
	v_pk_mul_f32 v[134:135], v[122:123], s[6:7] op_sel_hi:[1,0]
	v_pk_fma_f32 v[8:9], v[8:9], s[12:13], v[16:17] op_sel_hi:[1,0,1]
	v_pk_fma_f32 v[138:139], v[122:123], s[12:13], v[134:135] op_sel:[0,0,1] op_sel_hi:[1,0,0]
	v_pk_fma_f32 v[122:123], v[122:123], s[12:13], v[134:135] op_sel:[0,0,1] op_sel_hi:[1,0,0] neg_lo:[0,0,1] neg_hi:[0,0,1]
	v_lshlrev_b32_e32 v146, 4, v58
	v_mov_b32_e32 v139, v123
	v_mov_b32_e32 v122, v14
	;; [unrolled: 1-line block ×4, first 2 shown]
	v_pk_fma_f32 v[14:15], v[2:3], s[12:13], v[122:123] op_sel_hi:[1,0,1]
	v_pk_fma_f32 v[2:3], v[2:3], s[12:13], v[12:13] op_sel_hi:[1,0,1]
	v_pk_mul_f32 v[12:13], v[8:9], s[12:13] op_sel_hi:[1,0]
	v_mov_b32_e32 v147, v197
	v_pk_fma_f32 v[8:9], v[8:9], s[16:17], v[12:13] op_sel:[0,0,1] op_sel_hi:[1,1,0] neg_lo:[0,0,1] neg_hi:[0,0,1]
	v_pk_add_f32 v[12:13], v[14:15], v[138:139]
	v_pk_add_f32 v[16:17], v[2:3], v[8:9] op_sel:[0,1] op_sel_hi:[1,0]
	ds_write2_b64 v91, v[12:13], v[16:17] offset0:60 offset1:90
	v_pk_mul_f32 v[12:13], v[10:11], s[14:15] op_sel_hi:[1,0]
	v_pk_add_f32 v[2:3], v[2:3], v[8:9] op_sel:[0,1] op_sel_hi:[1,0] neg_lo:[0,1] neg_hi:[0,1]
	v_pk_fma_f32 v[10:11], v[10:11], s[18:19], v[12:13] op_sel:[0,0,1] op_sel_hi:[1,1,0] neg_lo:[0,0,1] neg_hi:[0,0,1]
	v_pk_add_f32 v[8:9], v[70:71], v[68:69] neg_lo:[0,1] neg_hi:[0,1]
	v_pk_add_f32 v[16:17], v[0:1], v[10:11] op_sel:[0,1] op_sel_hi:[1,0]
	v_pk_add_f32 v[0:1], v[0:1], v[10:11] op_sel:[0,1] op_sel_hi:[1,0] neg_lo:[0,1] neg_hi:[0,1]
	ds_write2_b64 v5, v[2:3], v[0:1] offset0:112 offset1:142
	v_mov_b32_e32 v5, v85
	v_pk_add_f32 v[0:1], v[80:81], v[82:83] neg_lo:[0,1] neg_hi:[0,1]
	v_pk_add_f32 v[2:3], v[110:111], v[96:97] neg_lo:[0,1] neg_hi:[0,1]
	;; [unrolled: 1-line block ×3, first 2 shown]
	v_pk_add_f32 v[0:1], v[0:1], v[2:3]
	v_pk_add_f32 v[2:3], v[4:5], v[6:7] neg_lo:[0,1] neg_hi:[0,1]
	ds_write2_b64 v91, v[16:17], v[12:13] offset0:120 offset1:150
	v_pk_add_f32 v[2:3], v[2:3], v[8:9]
	v_pk_add_f32 v[8:9], v[6:7], v[68:69]
	v_pk_add_f32 v[12:13], v[168:169], v[166:167] neg_lo:[0,1] neg_hi:[0,1]
	v_pk_add_f32 v[14:15], v[14:15], v[138:139] neg_lo:[0,1] neg_hi:[0,1]
	v_pk_fma_f32 v[8:9], v[8:9], 0.5, v[64:65] op_sel_hi:[1,0,1] neg_lo:[1,0,0] neg_hi:[1,0,0]
	v_pk_add_f32 v[10:11], v[4:5], v[70:71] neg_lo:[0,1] neg_hi:[0,1]
	ds_write2_b64 v91, v[12:13], v[14:15] offset0:180 offset1:210
	v_pk_fma_f32 v[12:13], v[10:11], s[6:7], v[8:9] op_sel:[1,0,0] op_sel_hi:[0,0,1]
	v_pk_fma_f32 v[8:9], v[10:11], s[6:7], v[8:9] op_sel:[1,0,0] op_sel_hi:[0,0,1] neg_lo:[1,0,0] neg_hi:[1,0,0]
	v_pk_add_f32 v[14:15], v[6:7], v[68:69] neg_lo:[0,1] neg_hi:[0,1]
	v_pk_add_f32 v[84:85], v[52:53], v[80:81]
	v_pk_fma_f32 v[8:9], v[14:15], s[8:9], v[8:9] op_sel:[1,0,0] op_sel_hi:[0,0,1] neg_lo:[1,0,0] neg_hi:[1,0,0]
	v_pk_fma_f32 v[12:13], v[14:15], s[8:9], v[12:13] op_sel:[1,0,0] op_sel_hi:[0,0,1]
	v_mov_b32_e32 v16, v12
	v_mov_b32_e32 v17, v9
	v_pk_fma_f32 v[16:17], v[2:3], s[12:13], v[16:17] op_sel_hi:[1,0,1]
	s_movk_i32 s13, 0x12c
	v_pk_mul_f32 v[18:19], v[16:17], s[14:15] op_sel_hi:[1,0]
	v_mad_legacy_u16 v9, v43, s13, v47
	v_pk_fma_f32 v[16:17], v[16:17], s[8:9], v[18:19] op_sel:[0,0,1] op_sel_hi:[1,1,0] neg_lo:[0,0,1] neg_hi:[0,0,1]
	v_pk_add_f32 v[18:19], v[82:83], v[96:97]
	v_lshlrev_b32_e32 v75, 3, v9
	v_pk_fma_f32 v[18:19], v[18:19], 0.5, v[52:53] op_sel_hi:[1,0,1] neg_lo:[1,0,0] neg_hi:[1,0,0]
	v_mov_b32_e32 v9, v13
	v_pk_fma_f32 v[22:23], v[20:21], s[6:7], v[18:19] op_sel:[1,0,0] op_sel_hi:[0,0,1] neg_lo:[1,0,0] neg_hi:[1,0,0]
	v_pk_fma_f32 v[18:19], v[20:21], s[6:7], v[18:19] op_sel:[1,0,0] op_sel_hi:[0,0,1]
	v_pk_add_f32 v[86:87], v[64:65], v[4:5]
	v_pk_fma_f32 v[2:3], v[2:3], s[12:13], v[8:9] op_sel_hi:[1,0,1]
	v_pk_fma_f32 v[18:19], v[54:55], s[8:9], v[18:19] op_sel:[1,0,0] op_sel_hi:[0,0,1]
	v_pk_fma_f32 v[22:23], v[54:55], s[8:9], v[22:23] op_sel:[1,0,0] op_sel_hi:[0,0,1] neg_lo:[1,0,0] neg_hi:[1,0,0]
	v_pk_add_f32 v[84:85], v[84:85], v[82:83]
	v_pk_add_f32 v[86:87], v[86:87], v[6:7]
	v_pk_mul_f32 v[8:9], v[2:3], s[8:9] op_sel_hi:[1,0]
	v_mov_b32_e32 v66, v22
	v_mov_b32_e32 v67, v19
	v_pk_add_f32 v[84:85], v[84:85], v[96:97]
	v_pk_add_f32 v[86:87], v[86:87], v[68:69]
	v_mov_b32_e32 v19, v23
	v_pk_fma_f32 v[12:13], v[2:3], s[14:15], v[8:9] op_sel:[0,0,1] op_sel_hi:[1,0,0]
	v_pk_fma_f32 v[2:3], v[2:3], s[14:15], v[8:9] op_sel:[0,0,1] op_sel_hi:[1,0,0] neg_lo:[0,0,1] neg_hi:[0,0,1]
	v_pk_fma_f32 v[66:67], v[0:1], s[12:13], v[66:67] op_sel_hi:[1,0,1]
	v_pk_add_f32 v[84:85], v[84:85], v[110:111]
	v_pk_add_f32 v[86:87], v[86:87], v[70:71]
	v_pk_fma_f32 v[0:1], v[0:1], s[12:13], v[18:19] op_sel_hi:[1,0,1]
	v_mov_b32_e32 v8, v13
	v_mov_b32_e32 v9, v2
	v_pk_add_f32 v[108:109], v[84:85], v[86:87] op_sel:[0,1] op_sel_hi:[1,0] neg_lo:[0,1] neg_hi:[0,1]
	v_pk_add_f32 v[84:85], v[84:85], v[86:87] op_sel:[0,1] op_sel_hi:[1,0]
	v_pk_add_f32 v[2:3], v[0:1], v[8:9]
	ds_write2_b64 v75, v[84:85], v[2:3] offset1:30
	v_pk_add_f32 v[2:3], v[80:81], v[110:111]
	v_pk_add_f32 v[12:13], v[82:83], v[80:81] neg_lo:[0,1] neg_hi:[0,1]
	v_pk_fma_f32 v[2:3], v[2:3], 0.5, v[52:53] op_sel_hi:[1,0,1] neg_lo:[1,0,0] neg_hi:[1,0,0]
	v_pk_add_f32 v[18:19], v[96:97], v[110:111] neg_lo:[0,1] neg_hi:[0,1]
	v_pk_add_f32 v[0:1], v[0:1], v[8:9] neg_lo:[0,1] neg_hi:[0,1]
	v_pk_add_f32 v[12:13], v[12:13], v[18:19]
	v_pk_fma_f32 v[18:19], v[54:55], s[6:7], v[2:3] op_sel:[1,0,0] op_sel_hi:[0,0,1]
	v_pk_fma_f32 v[2:3], v[54:55], s[6:7], v[2:3] op_sel:[1,0,0] op_sel_hi:[0,0,1] neg_lo:[1,0,0] neg_hi:[1,0,0]
	v_pk_fma_f32 v[2:3], v[20:21], s[8:9], v[2:3] op_sel:[1,0,0] op_sel_hi:[0,0,1]
	v_pk_fma_f32 v[18:19], v[20:21], s[8:9], v[18:19] op_sel:[1,0,0] op_sel_hi:[0,0,1] neg_lo:[1,0,0] neg_hi:[1,0,0]
	v_pk_add_f32 v[20:21], v[4:5], v[70:71]
	v_pk_add_f32 v[4:5], v[6:7], v[4:5] neg_lo:[0,1] neg_hi:[0,1]
	v_pk_fma_f32 v[20:21], v[20:21], 0.5, v[64:65] op_sel_hi:[1,0,1] neg_lo:[1,0,0] neg_hi:[1,0,0]
	v_pk_add_f32 v[6:7], v[68:69], v[70:71] neg_lo:[0,1] neg_hi:[0,1]
	v_pk_add_f32 v[98:99], v[66:67], v[16:17]
	v_pk_add_f32 v[4:5], v[4:5], v[6:7]
	v_pk_fma_f32 v[6:7], v[14:15], s[6:7], v[20:21] op_sel:[1,0,0] op_sel_hi:[0,0,1] neg_lo:[1,0,0] neg_hi:[1,0,0]
	v_pk_fma_f32 v[14:15], v[14:15], s[6:7], v[20:21] op_sel:[1,0,0] op_sel_hi:[0,0,1]
	v_pk_fma_f32 v[14:15], v[10:11], s[8:9], v[14:15] op_sel:[1,0,0] op_sel_hi:[0,0,1] neg_lo:[1,0,0] neg_hi:[1,0,0]
	v_pk_fma_f32 v[6:7], v[10:11], s[8:9], v[6:7] op_sel:[1,0,0] op_sel_hi:[0,0,1]
	v_mov_b32_e32 v10, v6
	v_mov_b32_e32 v11, v15
	v_pk_fma_f32 v[10:11], v[4:5], s[12:13], v[10:11] op_sel_hi:[1,0,1]
	v_mov_b32_e32 v15, v7
	v_pk_mul_f32 v[20:21], v[10:11], s[12:13] op_sel_hi:[1,0]
	v_pk_fma_f32 v[4:5], v[4:5], s[12:13], v[14:15] op_sel_hi:[1,0,1]
	v_pk_fma_f32 v[10:11], v[10:11], s[6:7], v[20:21] op_sel:[0,0,1] op_sel_hi:[1,1,0] neg_lo:[0,0,1] neg_hi:[0,0,1]
	v_mov_b32_e32 v20, v18
	v_mov_b32_e32 v21, v3
	;; [unrolled: 1-line block ×3, first 2 shown]
	v_pk_mul_f32 v[6:7], v[4:5], s[6:7] op_sel_hi:[1,0]
	v_pk_fma_f32 v[18:19], v[12:13], s[12:13], v[20:21] op_sel_hi:[1,0,1]
	v_pk_fma_f32 v[2:3], v[12:13], s[12:13], v[2:3] op_sel_hi:[1,0,1]
	v_pk_fma_f32 v[12:13], v[4:5], s[12:13], v[6:7] op_sel:[0,0,1] op_sel_hi:[1,0,0]
	v_pk_fma_f32 v[4:5], v[4:5], s[12:13], v[6:7] op_sel:[0,0,1] op_sel_hi:[1,0,0] neg_lo:[0,0,1] neg_hi:[0,0,1]
	v_mov_b32_e32 v6, v13
	v_mov_b32_e32 v7, v4
	v_pk_add_f32 v[4:5], v[18:19], v[10:11]
	v_pk_add_f32 v[12:13], v[2:3], v[6:7]
	v_pk_add_f32 v[2:3], v[2:3], v[6:7] neg_lo:[0,1] neg_hi:[0,1]
	ds_write2_b64 v75, v[12:13], v[4:5] offset0:60 offset1:90
	ds_write2_b64 v75, v[0:1], v[2:3] offset0:180 offset1:210
	v_pk_add_f32 v[0:1], v[66:67], v[16:17] neg_lo:[0,1] neg_hi:[0,1]
	v_pk_add_f32 v[2:3], v[18:19], v[10:11] neg_lo:[0,1] neg_hi:[0,1]
	v_add_u32_e32 v4, 0x400, v75
	ds_write2_b64 v4, v[2:3], v[0:1] offset0:112 offset1:142
	v_lshlrev_b32_e32 v0, 4, v184
	ds_write2_b64 v75, v[98:99], v[108:109] offset0:120 offset1:150
	s_waitcnt lgkmcnt(0)
	s_barrier
	global_load_dwordx4 v[64:67], v0, s[10:11] offset:2376
	global_load_dwordx4 v[56:59], v0, s[10:11] offset:3336
	v_accvgpr_write_b32 a88, v4
	ds_read2_b64 v[2:5], v211 offset0:132 offset1:222
	global_load_dwordx4 v[68:71], v132, s[10:11] offset:2376
	global_load_dwordx4 v[52:55], v146, s[10:11] offset:2376
	v_lshrrev_b16_e32 v1, 2, v178
	v_mul_u32_u24_e32 v1, 0x6d3b, v1
	v_lshrrev_b32_e32 v1, 21, v1
	v_mul_lo_u16_e32 v1, 0x12c, v1
	v_sub_u16_e32 v31, v178, v1
	v_lshrrev_b16_e32 v1, 2, v162
	v_mul_u32_u24_e32 v1, 0x6d3b, v1
	v_lshrrev_b32_e32 v1, 21, v1
	v_mul_lo_u16_e32 v1, 0x12c, v1
	v_sub_u16_e32 v35, v162, v1
	v_lshrrev_b16_e32 v1, 2, v160
	v_mul_u32_u24_e32 v1, 0x6d3b, v1
	v_lshrrev_b32_e32 v39, 21, v1
	v_mul_lo_u16_e32 v1, 0x12c, v39
	v_sub_u16_e32 v43, v160, v1
	v_lshrrev_b16_e32 v1, 2, v154
	v_mul_u32_u24_e32 v1, 0x6d3b, v1
	v_lshrrev_b32_e32 v1, 21, v1
	v_mul_lo_u16_e32 v1, 0x12c, v1
	v_sub_u16_e32 v47, v154, v1
	v_mov_b32_e32 v1, v197
	v_lshl_add_u64 v[0:1], s[10:11], 0, v[0:1]
	v_add_co_u32_e32 v142, vcc, s3, v0
	s_movk_i32 s16, 0xffe2
	s_nop 0
	v_addc_co_u32_e32 v143, vcc, 0, v1, vcc
	s_mov_b32 s17, -1
	v_lshl_add_u64 v[0:1], v[184:185], 0, s[16:17]
	v_cmp_gt_u16_e32 vcc, 30, v184
	s_movk_i32 s7, 0x384
	v_lshlrev_b32_e32 v162, 4, v162
	v_cndmask_b32_e32 v21, v1, v153, vcc
	v_cndmask_b32_e32 v20, v0, v152, vcc
	v_lshl_add_u64 v[0:1], v[20:21], 4, s[10:11]
	v_cmp_lt_u16_e32 vcc, 29, v184
	v_lshl_add_u64 v[162:163], s[10:11], 0, v[162:163]
	s_mov_b32 s15, s8
	s_mov_b32 s16, 0xbe9e377a
	;; [unrolled: 1-line block ×4, first 2 shown]
	s_waitcnt vmcnt(3) lgkmcnt(0)
	v_pk_mul_f32 v[6:7], v[2:3], v[64:65] op_sel:[0,1]
	s_nop 0
	v_pk_fma_f32 v[150:151], v[2:3], v[64:65], v[6:7] op_sel:[0,0,1] op_sel_hi:[1,1,0] neg_lo:[0,0,1] neg_hi:[0,0,1]
	v_pk_fma_f32 v[248:249], v[2:3], v[64:65], v[6:7] op_sel:[0,0,1] op_sel_hi:[1,0,0]
	s_waitcnt vmcnt(1)
	v_pk_mul_f32 v[2:3], v[4:5], v[68:69] op_sel:[0,1]
	v_mov_b32_e32 v8, v67
	v_pk_fma_f32 v[254:255], v[4:5], v[68:69], v[2:3] op_sel:[0,0,1] op_sel_hi:[1,1,0] neg_lo:[0,0,1] neg_hi:[0,0,1]
	v_pk_fma_f32 v[10:11], v[4:5], v[68:69], v[2:3] op_sel:[0,0,1] op_sel_hi:[1,0,0]
	ds_read2_b64 v[2:5], v204 offset0:8 offset1:98
	v_mov_b32_e32 v151, v249
	v_mov_b32_e32 v255, v11
	s_waitcnt vmcnt(0)
	v_accvgpr_write_b32 a156, v55
	v_accvgpr_write_b32 a120, v67
	s_waitcnt lgkmcnt(0)
	v_pk_mul_f32 v[6:7], v[2:3], v[8:9] op_sel_hi:[1,0]
	v_accvgpr_write_b32 a108, v71
	v_pk_fma_f32 v[192:193], v[2:3], v[66:67], v[6:7] op_sel:[0,0,1] op_sel_hi:[1,1,0] neg_lo:[0,0,1] neg_hi:[0,0,1]
	v_pk_fma_f32 v[8:9], v[2:3], v[66:67], v[6:7] op_sel:[0,0,1] op_sel_hi:[1,0,0]
	v_mov_b32_e32 v6, v71
	v_pk_mul_f32 v[2:3], v[4:5], v[6:7] op_sel_hi:[1,0]
	v_lshlrev_b16_e32 v6, 4, v35
	v_mov_b32_e32 v7, v197
	v_pk_fma_f32 v[14:15], v[4:5], v[70:71], v[2:3] op_sel:[0,0,1] op_sel_hi:[1,1,0] neg_lo:[0,0,1] neg_hi:[0,0,1]
	v_pk_fma_f32 v[2:3], v[4:5], v[70:71], v[2:3] op_sel:[0,0,1] op_sel_hi:[1,0,0]
	v_lshlrev_b16_e32 v4, 4, v31
	v_mov_b32_e32 v5, v197
	v_lshl_add_u64 v[6:7], s[10:11], 0, v[6:7]
	v_lshl_add_u64 v[4:5], s[10:11], 0, v[4:5]
	global_load_dwordx4 v[84:87], v[6:7], off offset:2376
	global_load_dwordx4 v[80:83], v[4:5], off offset:2376
	ds_read2_b64 v[4:7], v195 offset0:84 offset1:174
	ds_read2_b64 v[96:99], v63 offset0:88 offset1:178
	v_mov_b32_e32 v15, v3
	v_mov_b32_e32 v193, v9
	v_lshlrev_b32_e32 v71, 3, v47
	v_lshlrev_b32_e32 v67, 3, v31
	v_accvgpr_write_b32 a152, v59
	v_mov_b32_e32 v31, v204
	s_waitcnt vmcnt(1) lgkmcnt(1)
	v_pk_mul_f32 v[12:13], v[6:7], v[84:85] op_sel:[0,1]
	s_nop 0
	v_pk_fma_f32 v[134:135], v[6:7], v[84:85], v[12:13] op_sel:[0,0,1] op_sel_hi:[1,1,0] neg_lo:[0,0,1] neg_hi:[0,0,1]
	v_pk_fma_f32 v[144:145], v[6:7], v[84:85], v[12:13] op_sel:[0,0,1] op_sel_hi:[1,0,0]
	s_waitcnt vmcnt(0)
	v_pk_mul_f32 v[6:7], v[4:5], v[80:81] op_sel:[0,1]
	v_mov_b32_e32 v2, v87
	v_pk_fma_f32 v[140:141], v[4:5], v[80:81], v[6:7] op_sel:[0,0,1] op_sel_hi:[1,1,0] neg_lo:[0,0,1] neg_hi:[0,0,1]
	v_pk_fma_f32 v[24:25], v[4:5], v[80:81], v[6:7] op_sel:[0,0,1] op_sel_hi:[1,0,0]
	s_waitcnt lgkmcnt(0)
	v_pk_mul_f32 v[4:5], v[98:99], v[2:3] op_sel_hi:[1,0]
	v_mov_b32_e32 v2, v83
	v_pk_fma_f32 v[158:159], v[98:99], v[86:87], v[4:5] op_sel:[0,0,1] op_sel_hi:[1,1,0] neg_lo:[0,0,1] neg_hi:[0,0,1]
	v_pk_fma_f32 v[16:17], v[98:99], v[86:87], v[4:5] op_sel:[0,0,1] op_sel_hi:[1,0,0]
	v_pk_mul_f32 v[4:5], v[96:97], v[2:3] op_sel_hi:[1,0]
	v_lshlrev_b16_e32 v6, 4, v47
	v_mov_b32_e32 v7, v197
	v_pk_fma_f32 v[164:165], v[96:97], v[82:83], v[4:5] op_sel:[0,0,1] op_sel_hi:[1,1,0] neg_lo:[0,0,1] neg_hi:[0,0,1]
	v_pk_fma_f32 v[18:19], v[96:97], v[82:83], v[4:5] op_sel:[0,0,1] op_sel_hi:[1,0,0]
	v_lshlrev_b16_e32 v4, 4, v43
	v_mov_b32_e32 v5, v197
	v_lshl_add_u64 v[6:7], s[10:11], 0, v[6:7]
	v_lshl_add_u64 v[4:5], s[10:11], 0, v[4:5]
	global_load_dwordx4 v[108:111], v[6:7], off offset:2376
	global_load_dwordx4 v[96:99], v[4:5], off offset:2376
	ds_read2_b64 v[120:123], v190 offset0:160 offset1:250
	v_mov_b32_e32 v16, v194
	v_pk_add_f32 v[6:7], v[150:151], v[192:193] neg_lo:[0,1] neg_hi:[0,1]
	v_mov_b32_e32 v135, v145
	v_mov_b32_e32 v159, v17
	;; [unrolled: 1-line block ×4, first 2 shown]
	v_accvgpr_write_b32 a124, v83
	v_accvgpr_write_b32 a136, v87
	v_mov_b32_e32 v87, v202
	s_waitcnt vmcnt(1) lgkmcnt(0)
	v_pk_mul_f32 v[4:5], v[122:123], v[108:109] op_sel:[0,1]
	s_nop 0
	v_pk_fma_f32 v[148:149], v[122:123], v[108:109], v[4:5] op_sel:[0,0,1] op_sel_hi:[1,1,0] neg_lo:[0,0,1] neg_hi:[0,0,1]
	v_pk_fma_f32 v[166:167], v[122:123], v[108:109], v[4:5] op_sel:[0,0,1] op_sel_hi:[1,0,0]
	s_waitcnt vmcnt(0)
	v_pk_mul_f32 v[4:5], v[120:121], v[96:97] op_sel:[0,1]
	v_mov_b32_e32 v2, v111
	v_pk_fma_f32 v[168:169], v[120:121], v[96:97], v[4:5] op_sel:[0,0,1] op_sel_hi:[1,1,0] neg_lo:[0,0,1] neg_hi:[0,0,1]
	v_pk_fma_f32 v[172:173], v[120:121], v[96:97], v[4:5] op_sel:[0,0,1] op_sel_hi:[1,0,0]
	ds_read2_b64 v[120:123], v191 offset0:36 offset1:126
	v_accvgpr_write_b32 a130, v99
	v_mov_b32_e32 v149, v167
	v_mov_b32_e32 v169, v173
	v_accvgpr_write_b32 a142, v111
	s_waitcnt lgkmcnt(0)
	v_pk_mul_f32 v[4:5], v[122:123], v[2:3] op_sel_hi:[1,0]
	v_mov_b32_e32 v2, v99
	v_pk_fma_f32 v[156:157], v[122:123], v[110:111], v[4:5] op_sel:[0,0,1] op_sel_hi:[1,1,0] neg_lo:[0,0,1] neg_hi:[0,0,1]
	v_pk_fma_f32 v[176:177], v[122:123], v[110:111], v[4:5] op_sel:[0,0,1] op_sel_hi:[1,0,0]
	v_pk_mul_f32 v[4:5], v[120:121], v[2:3] op_sel_hi:[1,0]
	v_mov_b32_e32 v157, v177
	v_pk_fma_f32 v[174:175], v[120:121], v[98:99], v[4:5] op_sel:[0,0,1] op_sel_hi:[1,1,0] neg_lo:[0,0,1] neg_hi:[0,0,1]
	v_pk_fma_f32 v[252:253], v[120:121], v[98:99], v[4:5] op_sel:[0,0,1] op_sel_hi:[1,0,0]
	global_load_dwordx4 v[120:123], v[0:1], off offset:2376
	global_load_dwordx4 v[136:139], v[142:143], off offset:680
	ds_read2_b64 v[216:219], v194 offset0:108 offset1:198
	v_mov_b32_e32 v175, v253
	v_mov_b32_e32 v111, v188
	s_waitcnt vmcnt(1)
	v_accvgpr_write_b32 a146, v123
	s_waitcnt vmcnt(0) lgkmcnt(0)
	v_pk_mul_f32 v[0:1], v[218:219], v[136:137] op_sel:[0,1]
	v_mov_b32_e32 v2, v139
	v_pk_fma_f32 v[22:23], v[218:219], v[136:137], v[0:1] op_sel:[0,0,1] op_sel_hi:[1,1,0] neg_lo:[0,0,1] neg_hi:[0,0,1]
	v_pk_fma_f32 v[186:187], v[218:219], v[136:137], v[0:1] op_sel:[0,0,1] op_sel_hi:[1,0,0]
	v_pk_mul_f32 v[0:1], v[216:217], v[56:57] op_sel:[0,1]
	v_mov_b32_e32 v23, v187
	v_pk_fma_f32 v[224:225], v[216:217], v[56:57], v[0:1] op_sel:[0,0,1] op_sel_hi:[1,1,0] neg_lo:[0,0,1] neg_hi:[0,0,1]
	v_pk_fma_f32 v[228:229], v[216:217], v[56:57], v[0:1] op_sel:[0,0,1] op_sel_hi:[1,0,0]
	ds_read2_b64 v[216:219], v206 offset0:112 offset1:202
	v_mov_b32_e32 v225, v229
	v_accvgpr_write_b32 a162, v139
	s_waitcnt lgkmcnt(0)
	v_pk_mul_f32 v[0:1], v[218:219], v[2:3] op_sel_hi:[1,0]
	v_mov_b32_e32 v2, v59
	v_pk_fma_f32 v[230:231], v[218:219], v[138:139], v[0:1] op_sel:[0,0,1] op_sel_hi:[1,1,0] neg_lo:[0,0,1] neg_hi:[0,0,1]
	v_pk_fma_f32 v[232:233], v[218:219], v[138:139], v[0:1] op_sel:[0,0,1] op_sel_hi:[1,0,0]
	v_pk_mul_f32 v[0:1], v[216:217], v[2:3] op_sel_hi:[1,0]
	v_mov_b32_e32 v2, v55
	v_pk_fma_f32 v[234:235], v[216:217], v[58:59], v[0:1] op_sel:[0,0,1] op_sel_hi:[1,1,0] neg_lo:[0,0,1] neg_hi:[0,0,1]
	v_pk_fma_f32 v[236:237], v[216:217], v[58:59], v[0:1] op_sel:[0,0,1] op_sel_hi:[1,0,0]
	ds_read2_b64 v[216:219], v205 offset0:56 offset1:146
	v_mov_b32_e32 v231, v233
	v_mov_b32_e32 v235, v237
	v_lshlrev_b32_e32 v59, 3, v35
	v_mov_b32_e32 v35, v205
	s_waitcnt lgkmcnt(0)
	v_pk_mul_f32 v[0:1], v[216:217], v[52:53] op_sel:[0,1]
	v_mov_b32_e32 v139, v189
	v_pk_fma_f32 v[238:239], v[216:217], v[52:53], v[0:1] op_sel:[0,0,1] op_sel_hi:[1,1,0] neg_lo:[0,0,1] neg_hi:[0,0,1]
	v_pk_fma_f32 v[240:241], v[216:217], v[52:53], v[0:1] op_sel:[0,0,1] op_sel_hi:[1,0,0]
	v_pk_mul_f32 v[0:1], v[218:219], v[120:121] op_sel:[0,1]
	v_mov_b32_e32 v239, v241
	v_pk_fma_f32 v[242:243], v[218:219], v[120:121], v[0:1] op_sel:[0,0,1] op_sel_hi:[1,1,0] neg_lo:[0,0,1] neg_hi:[0,0,1]
	v_pk_fma_f32 v[12:13], v[218:219], v[120:121], v[0:1] op_sel:[0,0,1] op_sel_hi:[1,0,0]
	ds_read2_b64 v[216:219], v207 offset0:60 offset1:150
	v_mov_b32_e32 v243, v13
	s_waitcnt lgkmcnt(0)
	v_pk_mul_f32 v[0:1], v[216:217], v[2:3] op_sel_hi:[1,0]
	v_mov_b32_e32 v2, v123
	v_pk_fma_f32 v[26:27], v[216:217], v[54:55], v[0:1] op_sel:[0,0,1] op_sel_hi:[1,1,0] neg_lo:[0,0,1] neg_hi:[0,0,1]
	v_pk_fma_f32 v[170:171], v[216:217], v[54:55], v[0:1] op_sel:[0,0,1] op_sel_hi:[1,0,0]
	v_pk_mul_f32 v[0:1], v[218:219], v[2:3] op_sel_hi:[1,0]
	v_mov_b32_e32 v27, v171
	v_pk_fma_f32 v[226:227], v[218:219], v[122:123], v[0:1] op_sel:[0,0,1] op_sel_hi:[1,1,0] neg_lo:[0,0,1] neg_hi:[0,0,1]
	v_pk_fma_f32 v[214:215], v[218:219], v[122:123], v[0:1] op_sel:[0,0,1] op_sel_hi:[1,0,0]
	ds_read2_b64 v[0:3], v196 offset1:90
	ds_read2_b64 v[216:219], v210 offset0:52 offset1:142
	ds_read2_b64 v[8:11], v188 offset0:80 offset1:170
	;; [unrolled: 1-line block ×3, first 2 shown]
	v_mov_b32_e32 v227, v215
	v_mov_b32_e32 v55, v16
	v_mov_b32_e32 v123, v190
	s_waitcnt lgkmcnt(3)
	v_pk_add_f32 v[4:5], v[0:1], v[150:151]
	s_waitcnt lgkmcnt(0)
	v_pk_add_f32 v[18:19], v[250:251], v[148:149]
	v_pk_add_f32 v[194:195], v[4:5], v[192:193]
	;; [unrolled: 1-line block ×3, first 2 shown]
	s_nop 0
	v_pk_fma_f32 v[0:1], v[4:5], 0.5, v[0:1] op_sel_hi:[1,0,1] neg_lo:[1,0,0] neg_hi:[1,0,0]
	v_pk_mul_f32 v[4:5], v[6:7], s[2:3] op_sel_hi:[1,0]
	s_nop 0
	v_pk_add_f32 v[150:151], v[0:1], v[4:5] op_sel:[0,1] op_sel_hi:[1,0] neg_lo:[0,1] neg_hi:[0,1]
	v_pk_add_f32 v[0:1], v[0:1], v[4:5] op_sel:[0,1] op_sel_hi:[1,0]
	v_mov_b32_e32 v193, v151
	v_mov_b32_e32 v192, v0
	;; [unrolled: 1-line block ×3, first 2 shown]
	v_pk_add_f32 v[0:1], v[2:3], v[254:255]
	ds_read2_b64 v[4:7], v202 offset0:104 offset1:194
	v_pk_add_f32 v[0:1], v[0:1], v[14:15]
	s_waitcnt lgkmcnt(0)
	s_barrier
	ds_write_b64 v196, v[192:193] offset:2400
	ds_write_b64 v196, v[150:151] offset:4800
	ds_write2_b64 v196, v[194:195], v[0:1] offset1:90
	v_pk_add_f32 v[0:1], v[254:255], v[14:15]
	s_nop 0
	v_pk_fma_f32 v[0:1], v[0:1], 0.5, v[2:3] op_sel_hi:[1,0,1] neg_lo:[1,0,0] neg_hi:[1,0,0]
	v_pk_add_f32 v[2:3], v[254:255], v[14:15] neg_lo:[0,1] neg_hi:[0,1]
	s_nop 0
	v_pk_mul_f32 v[2:3], v[2:3], s[2:3] op_sel_hi:[1,0]
	s_nop 0
	v_pk_add_f32 v[14:15], v[0:1], v[2:3] op_sel:[0,1] op_sel_hi:[1,0] neg_lo:[0,1] neg_hi:[0,1]
	v_pk_add_f32 v[0:1], v[0:1], v[2:3] op_sel:[0,1] op_sel_hi:[1,0]
	v_pk_add_f32 v[2:3], v[216:217], v[238:239]
	s_nop 0
	v_pk_add_f32 v[2:3], v[2:3], v[26:27]
	ds_write_b64 v196, v[2:3] offset:1440
	v_pk_add_f32 v[2:3], v[238:239], v[26:27]
	v_pk_add_f32 v[26:27], v[238:239], v[26:27] neg_lo:[0,1] neg_hi:[0,1]
	v_pk_fma_f32 v[2:3], v[2:3], 0.5, v[216:217] op_sel_hi:[1,0,1] neg_lo:[1,0,0] neg_hi:[1,0,0]
	v_pk_mul_f32 v[26:27], v[26:27], s[2:3] op_sel_hi:[1,0]
	s_nop 0
	v_pk_add_f32 v[150:151], v[2:3], v[26:27] op_sel:[0,1] op_sel_hi:[1,0] neg_lo:[0,1] neg_hi:[0,1]
	v_pk_add_f32 v[2:3], v[2:3], v[26:27] op_sel:[0,1] op_sel_hi:[1,0]
	v_mov_b32_e32 v26, v0
	v_mov_b32_e32 v0, 0x384
	;; [unrolled: 1-line block ×5, first 2 shown]
	v_cndmask_b32_e32 v0, 0, v0, vcc
	v_pk_add_f32 v[2:3], v[218:219], v[242:243]
	v_mov_b32_e32 v27, v15
	v_mov_b32_e32 v15, v1
	v_add_lshl_u32 v99, v20, v0, 3
	v_pk_add_f32 v[2:3], v[2:3], v[226:227]
	ds_write2_b64 v202, v[26:27], v[170:171] offset0:134 offset1:224
	ds_write2_b64 v188, v[14:15], v[150:151] offset0:50 offset1:140
	v_pk_add_f32 v[0:1], v[242:243], v[226:227]
	ds_write_b64 v99, v[2:3]
	v_pk_add_f32 v[2:3], v[242:243], v[226:227] neg_lo:[0,1] neg_hi:[0,1]
	v_pk_fma_f32 v[0:1], v[0:1], 0.5, v[218:219] op_sel_hi:[1,0,1] neg_lo:[1,0,0] neg_hi:[1,0,0]
	v_pk_mul_f32 v[2:3], v[2:3], s[2:3] op_sel_hi:[1,0]
	v_pk_add_f32 v[20:21], v[248:249], v[168:169]
	v_pk_add_f32 v[12:13], v[0:1], v[2:3] op_sel:[0,1] op_sel_hi:[1,0]
	v_pk_add_f32 v[0:1], v[0:1], v[2:3] op_sel:[0,1] op_sel_hi:[1,0] neg_lo:[0,1] neg_hi:[0,1]
	v_mov_b32_e32 v2, v12
	v_mov_b32_e32 v3, v1
	;; [unrolled: 1-line block ×3, first 2 shown]
	ds_write_b64 v99, v[2:3] offset:2400
	ds_write_b64 v99, v[0:1] offset:4800
	v_pk_add_f32 v[0:1], v[22:23], v[230:231]
	v_pk_add_f32 v[2:3], v[224:225], v[234:235]
	v_pk_fma_f32 v[0:1], v[0:1], 0.5, v[6:7] op_sel_hi:[1,0,1] neg_lo:[1,0,0] neg_hi:[1,0,0]
	v_pk_fma_f32 v[2:3], v[2:3], 0.5, v[4:5] op_sel_hi:[1,0,1] neg_lo:[1,0,0] neg_hi:[1,0,0]
	v_pk_add_f32 v[4:5], v[4:5], v[224:225]
	v_pk_add_f32 v[6:7], v[6:7], v[22:23]
	v_pk_add_f32 v[4:5], v[4:5], v[234:235]
	v_pk_add_f32 v[6:7], v[6:7], v[230:231]
	ds_write2_b64 v203, v[4:5], v[6:7] offset0:64 offset1:154
	v_pk_add_f32 v[4:5], v[22:23], v[230:231] neg_lo:[0,1] neg_hi:[0,1]
	v_pk_add_f32 v[22:23], v[168:169], v[174:175] neg_lo:[0,1] neg_hi:[0,1]
	v_pk_mul_f32 v[4:5], v[4:5], s[2:3] op_sel_hi:[1,0]
	v_pk_mul_f32 v[22:23], v[22:23], s[2:3] op_sel_hi:[1,0]
	v_pk_add_f32 v[6:7], v[0:1], v[4:5] op_sel:[0,1] op_sel_hi:[1,0] neg_lo:[0,1] neg_hi:[0,1]
	v_pk_add_f32 v[0:1], v[0:1], v[4:5] op_sel:[0,1] op_sel_hi:[1,0]
	v_pk_add_f32 v[4:5], v[224:225], v[234:235] neg_lo:[0,1] neg_hi:[0,1]
	v_mov_b32_e32 v14, v0
	v_pk_mul_f32 v[4:5], v[4:5], s[2:3] op_sel_hi:[1,0]
	v_mov_b32_e32 v15, v7
	v_pk_add_f32 v[12:13], v[2:3], v[4:5] op_sel:[0,1] op_sel_hi:[1,0] neg_lo:[0,1] neg_hi:[0,1]
	v_pk_add_f32 v[2:3], v[2:3], v[4:5] op_sel:[0,1] op_sel_hi:[1,0]
	v_mov_b32_e32 v5, v13
	v_mov_b32_e32 v4, v2
	v_mov_b32_e32 v13, v3
	v_mov_b32_e32 v7, v1
	v_pk_add_f32 v[0:1], v[134:135], v[158:159]
	v_pk_add_f32 v[2:3], v[134:135], v[158:159] neg_lo:[0,1] neg_hi:[0,1]
	v_pk_fma_f32 v[0:1], v[0:1], 0.5, v[10:11] op_sel_hi:[1,0,1] neg_lo:[1,0,0] neg_hi:[1,0,0]
	v_pk_mul_f32 v[2:3], v[2:3], s[2:3] op_sel_hi:[1,0]
	ds_write2_b64 v16, v[4:5], v[14:15] offset0:108 offset1:198
	ds_write2_b64 v79, v[12:13], v[6:7] offset0:24 offset1:114
	v_pk_add_f32 v[4:5], v[0:1], v[2:3] op_sel:[0,1] op_sel_hi:[1,0] neg_lo:[0,1] neg_hi:[0,1]
	v_pk_add_f32 v[0:1], v[0:1], v[2:3] op_sel:[0,1] op_sel_hi:[1,0]
	v_pk_add_f32 v[2:3], v[140:141], v[164:165]
	v_pk_add_f32 v[6:7], v[10:11], v[134:135]
	v_pk_add_f32 v[10:11], v[140:141], v[164:165] neg_lo:[0,1] neg_hi:[0,1]
	v_pk_fma_f32 v[2:3], v[2:3], 0.5, v[8:9] op_sel_hi:[1,0,1] neg_lo:[1,0,0] neg_hi:[1,0,0]
	v_pk_mul_f32 v[10:11], v[10:11], s[2:3] op_sel_hi:[1,0]
	v_pk_add_f32 v[14:15], v[148:149], v[156:157] neg_lo:[0,1] neg_hi:[0,1]
	v_pk_add_f32 v[12:13], v[2:3], v[10:11] op_sel:[0,1] op_sel_hi:[1,0] neg_lo:[0,1] neg_hi:[0,1]
	v_pk_add_f32 v[2:3], v[2:3], v[10:11] op_sel:[0,1] op_sel_hi:[1,0]
	v_pk_add_f32 v[10:11], v[148:149], v[156:157]
	v_pk_mul_f32 v[14:15], v[14:15], s[2:3] op_sel_hi:[1,0]
	v_pk_fma_f32 v[10:11], v[10:11], 0.5, v[250:251] op_sel_hi:[1,0,1] neg_lo:[1,0,0] neg_hi:[1,0,0]
	v_pk_add_f32 v[8:9], v[8:9], v[140:141]
	v_pk_add_f32 v[16:17], v[10:11], v[14:15] op_sel:[0,1] op_sel_hi:[1,0] neg_lo:[0,1] neg_hi:[0,1]
	v_pk_add_f32 v[10:11], v[10:11], v[14:15] op_sel:[0,1] op_sel_hi:[1,0]
	v_pk_add_f32 v[14:15], v[168:169], v[174:175]
	v_pk_add_f32 v[20:21], v[20:21], v[174:175]
	v_pk_fma_f32 v[14:15], v[14:15], 0.5, v[248:249] op_sel_hi:[1,0,1] neg_lo:[1,0,0] neg_hi:[1,0,0]
	v_pk_add_f32 v[8:9], v[8:9], v[164:165]
	v_pk_add_f32 v[24:25], v[14:15], v[22:23] op_sel:[0,1] op_sel_hi:[1,0] neg_lo:[0,1] neg_hi:[0,1]
	v_pk_add_f32 v[14:15], v[14:15], v[22:23] op_sel:[0,1] op_sel_hi:[1,0]
	v_mad_legacy_u16 v22, v39, s7, v43
	v_lshlrev_b32_e32 v83, 3, v22
	ds_write_b64 v83, v[20:21]
	v_mov_b32_e32 v20, v14
	v_mov_b32_e32 v21, v25
	;; [unrolled: 1-line block ×3, first 2 shown]
	v_pk_add_f32 v[14:15], v[18:19], v[156:157]
	ds_write_b64 v83, v[20:21] offset:2400
	ds_write_b64 v83, v[24:25] offset:4800
	;; [unrolled: 1-line block ×4, first 2 shown]
	v_mov_b32_e32 v8, v2
	v_mov_b32_e32 v9, v13
	;; [unrolled: 1-line block ×3, first 2 shown]
	v_pk_add_f32 v[2:3], v[6:7], v[158:159]
	ds_write_b64 v59, v[2:3] offset:14400
	v_mov_b32_e32 v2, v0
	v_mov_b32_e32 v3, v5
	;; [unrolled: 1-line block ×3, first 2 shown]
	v_lshl_add_u64 v[0:1], s[10:11], 0, v[132:133]
	v_mov_b32_e32 v14, v10
	v_mov_b32_e32 v15, v17
	;; [unrolled: 1-line block ×3, first 2 shown]
	v_add_co_u32_e32 v0, vcc, s3, v0
	ds_write_b64 v71, v[14:15] offset:16800
	ds_write_b64 v71, v[16:17] offset:19200
	;; [unrolled: 1-line block ×6, first 2 shown]
	v_addc_co_u32_e32 v1, vcc, 0, v1, vcc
	s_waitcnt lgkmcnt(0)
	s_barrier
	global_load_dwordx4 v[140:143], v[142:143], off offset:3080
	s_nop 0
	global_load_dwordx4 v[132:135], v[0:1], off offset:3080
	ds_read2_b64 v[0:3], v211 offset0:132 offset1:222
	ds_read2_b64 v[8:11], v204 offset0:8 offset1:98
	v_mov_b32_e32 v43, v210
	v_mov_b32_e32 v39, v207
	s_waitcnt vmcnt(1) lgkmcnt(1)
	v_pk_mul_f32 v[6:7], v[0:1], v[140:141] op_sel:[0,1]
	s_nop 0
	v_pk_fma_f32 v[4:5], v[0:1], v[140:141], v[6:7] op_sel:[0,0,1] op_sel_hi:[1,1,0] neg_lo:[0,0,1] neg_hi:[0,0,1]
	v_pk_fma_f32 v[14:15], v[0:1], v[140:141], v[6:7] op_sel:[0,0,1] op_sel_hi:[1,0,0]
	s_waitcnt vmcnt(0)
	v_pk_mul_f32 v[6:7], v[2:3], v[132:133] op_sel:[0,1]
	v_mov_b32_e32 v5, v15
	v_pk_fma_f32 v[0:1], v[2:3], v[132:133], v[6:7] op_sel:[0,0,1] op_sel_hi:[1,1,0] neg_lo:[0,0,1] neg_hi:[0,0,1]
	v_pk_fma_f32 v[18:19], v[2:3], v[132:133], v[6:7] op_sel:[0,0,1] op_sel_hi:[1,0,0]
	v_mov_b32_e32 v6, v143
	s_waitcnt lgkmcnt(0)
	v_pk_mul_f32 v[2:3], v[8:9], v[6:7] op_sel_hi:[1,0]
	v_mov_b32_e32 v1, v19
	v_pk_fma_f32 v[6:7], v[8:9], v[142:143], v[2:3] op_sel:[0,0,1] op_sel_hi:[1,1,0] neg_lo:[0,0,1] neg_hi:[0,0,1]
	v_pk_fma_f32 v[16:17], v[8:9], v[142:143], v[2:3] op_sel:[0,0,1] op_sel_hi:[1,0,0]
	v_mov_b32_e32 v2, v135
	v_pk_mul_f32 v[8:9], v[10:11], v[2:3] op_sel_hi:[1,0]
	v_mov_b32_e32 v7, v17
	v_pk_fma_f32 v[2:3], v[10:11], v[134:135], v[8:9] op_sel:[0,0,1] op_sel_hi:[1,1,0] neg_lo:[0,0,1] neg_hi:[0,0,1]
	v_pk_fma_f32 v[20:21], v[10:11], v[134:135], v[8:9] op_sel:[0,0,1] op_sel_hi:[1,0,0]
	v_lshl_add_u64 v[8:9], s[10:11], 0, v[146:147]
	v_add_co_u32_e32 v8, vcc, s3, v8
	v_lshlrev_b32_e32 v10, 4, v152
	v_mov_b32_e32 v11, v197
	v_addc_co_u32_e32 v9, vcc, 0, v9, vcc
	v_lshl_add_u64 v[10:11], s[10:11], 0, v[10:11]
	v_add_co_u32_e32 v10, vcc, s3, v10
	v_mov_b32_e32 v3, v21
	s_nop 0
	v_addc_co_u32_e32 v11, vcc, 0, v11, vcc
	global_load_dwordx4 v[156:159], v[8:9], off offset:3080
	global_load_dwordx4 v[148:151], v[10:11], off offset:3080
	ds_read2_b64 v[8:11], v205 offset0:56 offset1:146
	v_accvgpr_write_b32 a180, v143
	v_mov_b32_e32 v143, v63
	v_accvgpr_write_b32 a174, v135
	v_mov_b32_e32 v135, v191
	s_waitcnt vmcnt(1) lgkmcnt(0)
	v_pk_mul_f32 v[12:13], v[8:9], v[156:157] op_sel:[0,1]
	s_nop 0
	v_pk_fma_f32 v[22:23], v[8:9], v[156:157], v[12:13] op_sel:[0,0,1] op_sel_hi:[1,1,0] neg_lo:[0,0,1] neg_hi:[0,0,1]
	v_pk_fma_f32 v[24:25], v[8:9], v[156:157], v[12:13] op_sel:[0,0,1] op_sel_hi:[1,0,0]
	s_waitcnt vmcnt(0)
	v_pk_mul_f32 v[12:13], v[10:11], v[148:149] op_sel:[0,1]
	v_mov_b32_e32 v14, v159
	v_pk_fma_f32 v[8:9], v[10:11], v[148:149], v[12:13] op_sel:[0,0,1] op_sel_hi:[1,1,0] neg_lo:[0,0,1] neg_hi:[0,0,1]
	v_pk_fma_f32 v[26:27], v[10:11], v[148:149], v[12:13] op_sel:[0,0,1] op_sel_hi:[1,0,0]
	ds_read2_b64 v[10:13], v207 offset0:60 offset1:150
	v_accvgpr_write_b32 a176, v151
	v_mov_b32_e32 v23, v25
	v_mov_b32_e32 v9, v27
	v_accvgpr_write_b32 a182, v159
	s_waitcnt lgkmcnt(0)
	v_pk_mul_f32 v[144:145], v[10:11], v[14:15] op_sel_hi:[1,0]
	v_mov_b32_e32 v14, v151
	v_pk_fma_f32 v[186:187], v[10:11], v[158:159], v[144:145] op_sel:[0,0,1] op_sel_hi:[1,1,0] neg_lo:[0,0,1] neg_hi:[0,0,1]
	v_pk_fma_f32 v[192:193], v[10:11], v[158:159], v[144:145] op_sel:[0,0,1] op_sel_hi:[1,0,0]
	v_pk_mul_f32 v[10:11], v[12:13], v[14:15] op_sel_hi:[1,0]
	v_mov_b32_e32 v187, v193
	v_pk_fma_f32 v[194:195], v[12:13], v[150:151], v[10:11] op_sel:[0,0,1] op_sel_hi:[1,1,0] neg_lo:[0,0,1] neg_hi:[0,0,1]
	v_pk_fma_f32 v[214:215], v[12:13], v[150:151], v[10:11] op_sel:[0,0,1] op_sel_hi:[1,0,0]
	v_lshlrev_b32_e32 v10, 4, v212
	v_mov_b32_e32 v11, v197
	v_lshl_add_u64 v[10:11], s[10:11], 0, v[10:11]
	v_add_co_u32_e32 v10, vcc, s3, v10
	v_lshlrev_b32_e32 v12, 4, v213
	v_mov_b32_e32 v13, v197
	v_addc_co_u32_e32 v11, vcc, 0, v11, vcc
	v_lshl_add_u64 v[12:13], s[10:11], 0, v[12:13]
	v_add_co_u32_e32 v12, vcc, s3, v12
	v_mov_b32_e32 v151, v206
	s_nop 0
	v_addc_co_u32_e32 v13, vcc, 0, v13, vcc
	global_load_dwordx4 v[164:167], v[10:11], off offset:3080
	global_load_dwordx4 v[144:147], v[12:13], off offset:3080
	ds_read2_b64 v[10:13], v55 offset0:108 offset1:198
	ds_read2_b64 v[216:219], v202 offset0:104 offset1:194
	v_mov_b32_e32 v195, v215
	v_mov_b32_e32 v159, v35
	s_waitcnt vmcnt(1) lgkmcnt(1)
	v_pk_mul_f32 v[152:153], v[10:11], v[164:165] op_sel:[0,1]
	s_nop 0
	v_pk_fma_f32 v[224:225], v[10:11], v[164:165], v[152:153] op_sel:[0,0,1] op_sel_hi:[1,1,0] neg_lo:[0,0,1] neg_hi:[0,0,1]
	v_pk_fma_f32 v[226:227], v[10:11], v[164:165], v[152:153] op_sel:[0,0,1] op_sel_hi:[1,0,0]
	s_waitcnt vmcnt(0)
	v_pk_mul_f32 v[10:11], v[12:13], v[144:145] op_sel:[0,1]
	v_mov_b32_e32 v14, v167
	v_pk_fma_f32 v[228:229], v[12:13], v[144:145], v[10:11] op_sel:[0,0,1] op_sel_hi:[1,1,0] neg_lo:[0,0,1] neg_hi:[0,0,1]
	v_pk_fma_f32 v[230:231], v[12:13], v[144:145], v[10:11] op_sel:[0,0,1] op_sel_hi:[1,0,0]
	ds_read2_b64 v[10:13], v206 offset0:112 offset1:202
	v_mov_b32_e32 v225, v227
	v_mov_b32_e32 v229, v231
	v_accvgpr_write_b32 a186, v167
	v_accvgpr_write_b32 a172, v147
	s_waitcnt lgkmcnt(0)
	v_pk_mul_f32 v[152:153], v[10:11], v[14:15] op_sel_hi:[1,0]
	v_mov_b32_e32 v14, v147
	v_pk_fma_f32 v[232:233], v[10:11], v[166:167], v[152:153] op_sel:[0,0,1] op_sel_hi:[1,1,0] neg_lo:[0,0,1] neg_hi:[0,0,1]
	v_pk_fma_f32 v[234:235], v[10:11], v[166:167], v[152:153] op_sel:[0,0,1] op_sel_hi:[1,0,0]
	v_pk_mul_f32 v[10:11], v[12:13], v[14:15] op_sel_hi:[1,0]
	v_mov_b32_e32 v233, v235
	v_pk_fma_f32 v[236:237], v[12:13], v[146:147], v[10:11] op_sel:[0,0,1] op_sel_hi:[1,1,0] neg_lo:[0,0,1] neg_hi:[0,0,1]
	v_pk_fma_f32 v[238:239], v[12:13], v[146:147], v[10:11] op_sel:[0,0,1] op_sel_hi:[1,0,0]
	v_lshlrev_b32_e32 v10, 4, v160
	v_mov_b32_e32 v11, v197
	v_lshl_add_u64 v[10:11], s[10:11], 0, v[10:11]
	v_add_co_u32_e32 v152, vcc, s3, v10
	v_lshlrev_b32_e32 v10, 4, v154
	s_nop 0
	v_addc_co_u32_e32 v153, vcc, 0, v11, vcc
	v_mov_b32_e32 v11, v197
	v_lshl_add_u64 v[10:11], s[10:11], 0, v[10:11]
	v_add_co_u32_e32 v154, vcc, s3, v10
	v_mov_b32_e32 v237, v239
	s_nop 0
	v_addc_co_u32_e32 v155, vcc, 0, v11, vcc
	ds_read2_b64 v[10:13], v196 offset1:90
	v_accvgpr_read_b32 v167, a1
	v_accvgpr_write_b32 a1, v51
	v_mov_b32_e32 v147, v79
	s_waitcnt lgkmcnt(0)
	v_pk_add_f32 v[14:15], v[10:11], v[4:5]
	s_nop 0
	v_pk_add_f32 v[160:161], v[14:15], v[6:7]
	ds_read2_b64 v[14:17], v210 offset0:52 offset1:142
	ds_write_b64 v196, v[160:161]
	global_load_dwordx4 v[168:171], v[152:153], off offset:3080
	s_nop 0
	global_load_dwordx4 v[152:155], v[154:155], off offset:3080
	ds_read2_b64 v[172:175], v190 offset0:160 offset1:250
	s_waitcnt lgkmcnt(2)
	v_pk_add_f32 v[20:21], v[14:15], v[22:23]
	s_nop 0
	v_pk_add_f32 v[20:21], v[20:21], v[186:187]
	s_waitcnt vmcnt(1) lgkmcnt(0)
	v_pk_mul_f32 v[160:161], v[172:173], v[168:169] op_sel:[0,1]
	s_nop 0
	v_pk_fma_f32 v[240:241], v[172:173], v[168:169], v[160:161] op_sel:[0,0,1] op_sel_hi:[1,1,0] neg_lo:[0,0,1] neg_hi:[0,0,1]
	v_pk_fma_f32 v[242:243], v[172:173], v[168:169], v[160:161] op_sel:[0,0,1] op_sel_hi:[1,0,0]
	s_waitcnt vmcnt(0)
	v_pk_mul_f32 v[160:161], v[174:175], v[152:153] op_sel:[0,1]
	v_mov_b32_e32 v18, v171
	v_pk_fma_f32 v[248:249], v[174:175], v[152:153], v[160:161] op_sel:[0,0,1] op_sel_hi:[1,1,0] neg_lo:[0,0,1] neg_hi:[0,0,1]
	v_pk_fma_f32 v[250:251], v[174:175], v[152:153], v[160:161] op_sel:[0,0,1] op_sel_hi:[1,0,0]
	ds_read2_b64 v[172:175], v191 offset0:36 offset1:126
	v_mov_b32_e32 v241, v243
	v_mov_b32_e32 v249, v251
	v_accvgpr_write_b32 a184, v171
	v_accvgpr_write_b32 a178, v155
	s_waitcnt lgkmcnt(0)
	v_pk_mul_f32 v[160:161], v[172:173], v[18:19] op_sel_hi:[1,0]
	v_mov_b32_e32 v18, v155
	v_pk_fma_f32 v[252:253], v[172:173], v[170:171], v[160:161] op_sel:[0,0,1] op_sel_hi:[1,1,0] neg_lo:[0,0,1] neg_hi:[0,0,1]
	v_pk_fma_f32 v[254:255], v[172:173], v[170:171], v[160:161] op_sel:[0,0,1] op_sel_hi:[1,0,0]
	v_pk_mul_f32 v[160:161], v[174:175], v[18:19] op_sel_hi:[1,0]
	v_mov_b32_e32 v253, v255
	v_pk_fma_f32 v[184:185], v[174:175], v[154:155], v[160:161] op_sel:[0,0,1] op_sel_hi:[1,1,0] neg_lo:[0,0,1] neg_hi:[0,0,1]
	v_pk_fma_f32 v[222:223], v[174:175], v[154:155], v[160:161] op_sel:[0,0,1] op_sel_hi:[1,0,0]
	v_lshlrev_b32_e32 v160, 4, v178
	v_mov_b32_e32 v161, v197
	v_lshl_add_u64 v[160:161], s[10:11], 0, v[160:161]
	v_add_co_u32_e32 v160, vcc, s3, v160
	v_mov_b32_e32 v185, v223
	s_nop 0
	v_addc_co_u32_e32 v161, vcc, 0, v161, vcc
	v_add_co_u32_e32 v162, vcc, s3, v162
	v_add_u32_e32 v197, 0x3400, v196
	s_nop 0
	v_addc_co_u32_e32 v163, vcc, 0, v163, vcc
	global_load_dwordx4 v[172:175], v[160:161], off offset:3080
	s_nop 0
	global_load_dwordx4 v[160:163], v[162:163], off offset:3080
	ds_read2_b64 v[176:179], v79 offset0:84 offset1:174
	v_accvgpr_read_b32 v171, a3
	s_mov_b64 s[10:11], 0x5460
	v_accvgpr_write_b32 a3, v167
	v_mov_b32_e32 v155, v39
	s_waitcnt vmcnt(1) lgkmcnt(0)
	v_pk_mul_f32 v[220:221], v[176:177], v[172:173] op_sel:[0,1]
	s_nop 0
	v_pk_fma_f32 v[212:213], v[176:177], v[172:173], v[220:221] op_sel:[0,0,1] op_sel_hi:[1,1,0] neg_lo:[0,0,1] neg_hi:[0,0,1]
	v_pk_fma_f32 v[220:221], v[176:177], v[172:173], v[220:221] op_sel:[0,0,1] op_sel_hi:[1,0,0]
	s_waitcnt vmcnt(0)
	v_pk_mul_f32 v[176:177], v[178:179], v[160:161] op_sel:[0,1]
	v_mov_b32_e32 v18, v175
	v_pk_fma_f32 v[210:211], v[178:179], v[160:161], v[176:177] op_sel:[0,0,1] op_sel_hi:[1,1,0] neg_lo:[0,0,1] neg_hi:[0,0,1]
	v_pk_fma_f32 v[208:209], v[178:179], v[160:161], v[176:177] op_sel:[0,0,1] op_sel_hi:[1,0,0]
	ds_read2_b64 v[176:179], v63 offset0:88 offset1:178
	v_mov_b32_e32 v213, v221
	v_mov_b32_e32 v211, v209
	v_accvgpr_write_b32 a188, v163
	v_accvgpr_write_b32 a190, v175
	s_waitcnt lgkmcnt(0)
	v_pk_mul_f32 v[206:207], v[176:177], v[18:19] op_sel_hi:[1,0]
	v_mov_b32_e32 v18, v163
	v_pk_fma_f32 v[204:205], v[176:177], v[174:175], v[206:207] op_sel:[0,0,1] op_sel_hi:[1,1,0] neg_lo:[0,0,1] neg_hi:[0,0,1]
	v_pk_fma_f32 v[176:177], v[176:177], v[174:175], v[206:207] op_sel:[0,0,1] op_sel_hi:[1,0,0]
	v_pk_mul_f32 v[206:207], v[178:179], v[18:19] op_sel_hi:[1,0]
	v_pk_add_f32 v[18:19], v[4:5], v[6:7]
	v_mov_b32_e32 v205, v177
	v_pk_fma_f32 v[10:11], v[18:19], 0.5, v[10:11] op_sel_hi:[1,0,1] neg_lo:[1,0,0] neg_hi:[1,0,0]
	v_pk_add_f32 v[18:19], v[0:1], v[2:3]
	v_pk_fma_f32 v[202:203], v[178:179], v[162:163], v[206:207] op_sel:[0,0,1] op_sel_hi:[1,1,0] neg_lo:[0,0,1] neg_hi:[0,0,1]
	v_pk_fma_f32 v[18:19], v[18:19], 0.5, v[12:13] op_sel_hi:[1,0,1] neg_lo:[1,0,0] neg_hi:[1,0,0]
	v_pk_add_f32 v[12:13], v[12:13], v[0:1]
	v_pk_add_f32 v[0:1], v[0:1], v[2:3] neg_lo:[0,1] neg_hi:[0,1]
	v_pk_add_f32 v[12:13], v[12:13], v[2:3]
	v_pk_mul_f32 v[0:1], v[0:1], s[2:3] op_sel_hi:[1,0]
	ds_write2_b64 v196, v[12:13], v[20:21] offset0:90 offset1:180
	v_pk_add_f32 v[2:3], v[18:19], v[0:1] op_sel:[0,1] op_sel_hi:[1,0]
	v_pk_add_f32 v[0:1], v[18:19], v[0:1] op_sel:[0,1] op_sel_hi:[1,0] neg_lo:[0,1] neg_hi:[0,1]
	v_pk_add_f32 v[12:13], v[22:23], v[186:187]
	v_pk_add_f32 v[18:19], v[22:23], v[186:187] neg_lo:[0,1] neg_hi:[0,1]
	v_pk_fma_f32 v[12:13], v[12:13], 0.5, v[14:15] op_sel_hi:[1,0,1] neg_lo:[1,0,0] neg_hi:[1,0,0]
	v_pk_mul_f32 v[14:15], v[18:19], s[2:3] op_sel_hi:[1,0]
	v_pk_fma_f32 v[178:179], v[178:179], v[162:163], v[206:207] op_sel:[0,0,1] op_sel_hi:[1,0,0]
	v_pk_add_f32 v[18:19], v[12:13], v[14:15] op_sel:[0,1] op_sel_hi:[1,0]
	v_pk_add_f32 v[12:13], v[12:13], v[14:15] op_sel:[0,1] op_sel_hi:[1,0] neg_lo:[0,1] neg_hi:[0,1]
	v_mov_b32_e32 v15, v1
	v_mov_b32_e32 v21, v13
	;; [unrolled: 1-line block ×5, first 2 shown]
	ds_write2_b64 v31, v[0:1], v[12:13] offset0:98 offset1:188
	v_pk_add_f32 v[2:3], v[16:17], v[8:9]
	v_pk_add_f32 v[12:13], v[216:217], v[224:225]
	;; [unrolled: 1-line block ×5, first 2 shown]
	ds_write2_b64 v87, v[2:3], v[12:13] offset0:14 offset1:104
	v_pk_add_f32 v[2:3], v[8:9], v[194:195] neg_lo:[0,1] neg_hi:[0,1]
	v_pk_fma_f32 v[0:1], v[0:1], 0.5, v[16:17] op_sel_hi:[1,0,1] neg_lo:[1,0,0] neg_hi:[1,0,0]
	v_pk_mul_f32 v[2:3], v[2:3], s[2:3] op_sel_hi:[1,0]
	v_pk_add_f32 v[12:13], v[224:225], v[232:233] neg_lo:[0,1] neg_hi:[0,1]
	v_pk_add_f32 v[8:9], v[0:1], v[2:3] op_sel:[0,1] op_sel_hi:[1,0]
	v_pk_add_f32 v[0:1], v[0:1], v[2:3] op_sel:[0,1] op_sel_hi:[1,0] neg_lo:[0,1] neg_hi:[0,1]
	v_pk_add_f32 v[2:3], v[224:225], v[232:233]
	v_mov_b32_e32 v20, v18
	v_pk_fma_f32 v[2:3], v[2:3], 0.5, v[216:217] op_sel_hi:[1,0,1] neg_lo:[1,0,0] neg_hi:[1,0,0]
	v_pk_mul_f32 v[12:13], v[12:13], s[2:3] op_sel_hi:[1,0]
	ds_write2_b64 v51, v[14:15], v[20:21] offset0:94 offset1:184
	v_pk_add_f32 v[14:15], v[2:3], v[12:13] op_sel:[0,1] op_sel_hi:[1,0]
	v_pk_add_f32 v[2:3], v[2:3], v[12:13] op_sel:[0,1] op_sel_hi:[1,0] neg_lo:[0,1] neg_hi:[0,1]
	v_mov_b32_e32 v13, v1
	v_mov_b32_e32 v17, v3
	;; [unrolled: 1-line block ×4, first 2 shown]
	ds_write2_b64 v151, v[0:1], v[2:3] offset0:22 offset1:112
	v_pk_add_f32 v[0:1], v[228:229], v[236:237]
	v_mov_b32_e32 v12, v8
	v_mov_b32_e32 v16, v14
	v_pk_fma_f32 v[8:9], v[0:1], 0.5, v[218:219] op_sel_hi:[1,0,1] neg_lo:[1,0,0] neg_hi:[1,0,0]
	v_pk_add_f32 v[0:1], v[218:219], v[228:229]
	ds_write2_b64 v35, v[12:13], v[16:17] offset0:146 offset1:236
	v_pk_add_f32 v[12:13], v[0:1], v[236:237]
	ds_read2_b64 v[0:3], v189 offset0:28 offset1:118
	v_add_u32_e32 v16, 0xc00, v196
	v_mov_b32_e32 v47, v16
	v_mov_b32_e32 v203, v179
	;; [unrolled: 1-line block ×3, first 2 shown]
	s_waitcnt lgkmcnt(0)
	v_pk_add_f32 v[14:15], v[0:1], v[240:241]
	v_accvgpr_write_b32 a99, v47
	v_pk_add_f32 v[14:15], v[14:15], v[252:253]
	ds_write2_b64 v16, v[12:13], v[14:15] offset0:66 offset1:156
	v_pk_add_f32 v[12:13], v[228:229], v[236:237] neg_lo:[0,1] neg_hi:[0,1]
	v_pk_add_f32 v[16:17], v[240:241], v[252:253] neg_lo:[0,1] neg_hi:[0,1]
	v_pk_mul_f32 v[12:13], v[12:13], s[2:3] op_sel_hi:[1,0]
	v_mov_b32_e32 v175, v95
	v_pk_add_f32 v[14:15], v[8:9], v[12:13] op_sel:[0,1] op_sel_hi:[1,0]
	v_pk_add_f32 v[8:9], v[8:9], v[12:13] op_sel:[0,1] op_sel_hi:[1,0] neg_lo:[0,1] neg_hi:[0,1]
	v_pk_add_f32 v[12:13], v[240:241], v[252:253]
	s_nop 0
	v_pk_fma_f32 v[0:1], v[12:13], 0.5, v[0:1] op_sel_hi:[1,0,1] neg_lo:[1,0,0] neg_hi:[1,0,0]
	v_pk_mul_f32 v[12:13], v[16:17], s[2:3] op_sel_hi:[1,0]
	s_nop 0
	v_pk_add_f32 v[16:17], v[0:1], v[12:13] op_sel:[0,1] op_sel_hi:[1,0]
	v_pk_add_f32 v[0:1], v[0:1], v[12:13] op_sel:[0,1] op_sel_hi:[1,0] neg_lo:[0,1] neg_hi:[0,1]
	v_mov_b32_e32 v13, v9
	v_mov_b32_e32 v19, v1
	;; [unrolled: 1-line block ×4, first 2 shown]
	ds_write2_b64 v167, v[8:9], v[0:1] offset0:74 offset1:164
	v_pk_add_f32 v[0:1], v[248:249], v[184:185]
	v_mov_b32_e32 v12, v14
	v_mov_b32_e32 v18, v16
	v_pk_fma_f32 v[8:9], v[0:1], 0.5, v[2:3] op_sel_hi:[1,0,1] neg_lo:[1,0,0] neg_hi:[1,0,0]
	v_pk_add_f32 v[0:1], v[2:3], v[248:249]
	ds_write2_b64 v190, v[12:13], v[18:19] offset0:70 offset1:160
	v_pk_add_f32 v[12:13], v[0:1], v[184:185]
	ds_read2_b64 v[0:3], v188 offset0:80 offset1:170
	v_pk_add_f32 v[16:17], v[212:213], v[204:205] neg_lo:[0,1] neg_hi:[0,1]
	s_waitcnt lgkmcnt(0)
	v_pk_add_f32 v[14:15], v[0:1], v[212:213]
	s_nop 0
	v_pk_add_f32 v[14:15], v[14:15], v[204:205]
	ds_write2_b64 v189, v[12:13], v[14:15] offset0:118 offset1:208
	v_pk_add_f32 v[12:13], v[248:249], v[184:185] neg_lo:[0,1] neg_hi:[0,1]
	s_nop 0
	v_pk_mul_f32 v[12:13], v[12:13], s[2:3] op_sel_hi:[1,0]
	s_nop 0
	v_pk_add_f32 v[14:15], v[8:9], v[12:13] op_sel:[0,1] op_sel_hi:[1,0]
	v_pk_add_f32 v[8:9], v[8:9], v[12:13] op_sel:[0,1] op_sel_hi:[1,0] neg_lo:[0,1] neg_hi:[0,1]
	v_pk_add_f32 v[12:13], v[212:213], v[204:205]
	s_nop 0
	v_pk_fma_f32 v[0:1], v[12:13], 0.5, v[0:1] op_sel_hi:[1,0,1] neg_lo:[1,0,0] neg_hi:[1,0,0]
	v_pk_mul_f32 v[12:13], v[16:17], s[2:3] op_sel_hi:[1,0]
	s_nop 0
	v_pk_add_f32 v[16:17], v[0:1], v[12:13] op_sel:[0,1] op_sel_hi:[1,0]
	v_pk_add_f32 v[0:1], v[0:1], v[12:13] op_sel:[0,1] op_sel_hi:[1,0] neg_lo:[0,1] neg_hi:[0,1]
	v_mov_b32_e32 v13, v9
	v_mov_b32_e32 v19, v1
	;; [unrolled: 1-line block ×4, first 2 shown]
	ds_write2_b64 v191, v[8:9], v[0:1] offset0:126 offset1:216
	v_pk_add_f32 v[0:1], v[4:5], v[6:7] neg_lo:[0,1] neg_hi:[0,1]
	v_pk_add_f32 v[6:7], v[2:3], v[210:211]
	v_pk_mul_f32 v[0:1], v[0:1], s[2:3] op_sel_hi:[1,0]
	v_pk_add_f32 v[6:7], v[6:7], v[202:203]
	v_pk_add_f32 v[4:5], v[10:11], v[0:1] op_sel:[0,1] op_sel_hi:[1,0]
	v_pk_add_f32 v[0:1], v[10:11], v[0:1] op_sel:[0,1] op_sel_hi:[1,0] neg_lo:[0,1] neg_hi:[0,1]
	v_mov_b32_e32 v8, v4
	v_mov_b32_e32 v9, v1
	ds_write2_b64 v95, v[6:7], v[8:9] offset0:42 offset1:132
	v_pk_add_f32 v[6:7], v[210:211], v[202:203]
	v_mov_b32_e32 v1, v5
	v_pk_add_f32 v[4:5], v[210:211], v[202:203] neg_lo:[0,1] neg_hi:[0,1]
	v_pk_fma_f32 v[2:3], v[6:7], 0.5, v[2:3] op_sel_hi:[1,0,1] neg_lo:[1,0,0] neg_hi:[1,0,0]
	v_pk_mul_f32 v[4:5], v[4:5], s[2:3] op_sel_hi:[1,0]
	v_mov_b32_e32 v12, v14
	v_pk_add_f32 v[6:7], v[2:3], v[4:5] op_sel:[0,1] op_sel_hi:[1,0]
	v_pk_add_f32 v[2:3], v[2:3], v[4:5] op_sel:[0,1] op_sel_hi:[1,0] neg_lo:[0,1] neg_hi:[0,1]
	v_mov_b32_e32 v4, v6
	v_mov_b32_e32 v5, v3
	ds_write2_b64 v197, v[4:5], v[0:1] offset0:46 offset1:136
	v_accvgpr_read_b32 v0, a170
	v_mov_b32_e32 v18, v16
	v_mov_b32_e32 v3, v7
	v_accvgpr_read_b32 v1, a171
	ds_write2_b64 v171, v[12:13], v[18:19] offset0:122 offset1:212
	ds_write_b64 v196, v[2:3] offset:20880
	s_waitcnt lgkmcnt(0)
	s_barrier
	global_load_dwordx2 v[0:1], v[0:1], off offset:1120
	v_lshl_add_u64 v[2:3], v[244:245], 0, s[10:11]
	global_load_dwordx2 v[8:9], v[2:3], off offset:720
	global_load_dwordx2 v[16:17], v[2:3], off offset:1440
	;; [unrolled: 1-line block ×3, first 2 shown]
	ds_read2_b64 v[4:7], v196 offset1:90
	s_movk_i32 s3, 0x7000
	s_mov_b32 s10, s12
	s_mov_b32 s11, s6
	s_waitcnt vmcnt(3) lgkmcnt(0)
	v_mul_f32_e32 v10, v5, v1
	v_mul_f32_e32 v11, v4, v1
	v_fma_f32 v10, v4, v0, -v10
	v_fmac_f32_e32 v11, v5, v0
	s_waitcnt vmcnt(2)
	v_mul_f32_e32 v0, v7, v9
	v_fma_f32 v4, v6, v8, -v0
	v_add_co_u32_e32 v0, vcc, s3, v244
	ds_write_b64 v196, v[10:11]
	s_nop 0
	v_addc_co_u32_e32 v1, vcc, 0, v245, vcc
	global_load_dwordx2 v[12:13], v[0:1], off offset:128
	global_load_dwordx2 v[14:15], v[0:1], off offset:848
	;; [unrolled: 1-line block ×3, first 2 shown]
	v_mul_f32_e32 v5, v6, v9
	v_fmac_f32_e32 v5, v7, v8
	ds_read2_b64 v[8:11], v95 offset0:132 offset1:222
	s_mov_b32 s3, 0x8000
	v_add_co_u32_e32 v176, vcc, s3, v244
	s_mov_b32 s3, 0x9000
	s_nop 0
	v_addc_co_u32_e32 v177, vcc, 0, v245, vcc
	v_add_co_u32_e32 v22, vcc, s3, v244
	s_movk_i32 s3, 0x6000
	s_nop 0
	v_addc_co_u32_e32 v23, vcc, 0, v245, vcc
	s_waitcnt vmcnt(2) lgkmcnt(0)
	v_mul_f32_e32 v6, v9, v13
	v_fma_f32 v6, v8, v12, -v6
	v_mul_f32_e32 v7, v8, v13
	s_waitcnt vmcnt(1)
	v_mul_f32_e32 v8, v11, v15
	v_mul_f32_e32 v187, v10, v15
	v_fmac_f32_e32 v7, v9, v12
	v_fma_f32 v186, v10, v14, -v8
	v_fmac_f32_e32 v187, v11, v14
	global_load_dwordx2 v[12:13], v[176:177], off offset:3232
	global_load_dwordx2 v[14:15], v[176:177], off offset:3952
	;; [unrolled: 1-line block ×4, first 2 shown]
	ds_read2_b64 v[8:11], v31 offset0:8 offset1:98
	s_waitcnt vmcnt(3) lgkmcnt(0)
	v_mul_f32_e32 v31, v9, v13
	v_mul_f32_e32 v193, v8, v13
	v_fma_f32 v192, v8, v12, -v31
	v_fmac_f32_e32 v193, v9, v12
	s_waitcnt vmcnt(2)
	v_mul_f32_e32 v8, v11, v15
	v_mul_f32_e32 v9, v10, v15
	v_fma_f32 v8, v10, v14, -v8
	v_fmac_f32_e32 v9, v11, v14
	ds_read2_b64 v[12:15], v43 offset0:52 offset1:142
	global_load_dwordx2 v[178:179], v[0:1], off offset:1568
	global_load_dwordx2 v[184:185], v[0:1], off offset:2288
	;; [unrolled: 1-line block ×4, first 2 shown]
	s_waitcnt lgkmcnt(0)
	v_mul_f32_e32 v10, v13, v17
	v_mul_f32_e32 v11, v12, v17
	v_fma_f32 v10, v12, v16, -v10
	v_fmac_f32_e32 v11, v13, v16
	v_mul_f32_e32 v12, v15, v19
	v_mul_f32_e32 v13, v14, v19
	v_fma_f32 v12, v14, v18, -v12
	v_fmac_f32_e32 v13, v15, v18
	ds_read2_b64 v[16:19], v35 offset0:56 offset1:146
	s_waitcnt vmcnt(3) lgkmcnt(0)
	v_mul_f32_e32 v0, v17, v179
	v_fma_f32 v14, v16, v178, -v0
	v_mul_f32_e32 v15, v16, v179
	s_waitcnt vmcnt(2)
	v_mul_f32_e32 v0, v19, v185
	v_mul_f32_e32 v253, v18, v185
	v_fmac_f32_e32 v15, v17, v178
	v_fma_f32 v252, v18, v184, -v0
	v_fmac_f32_e32 v253, v19, v184
	ds_read2_b64 v[16:19], v39 offset0:60 offset1:150
	s_waitcnt lgkmcnt(0)
	v_mul_f32_e32 v0, v17, v25
	v_mul_f32_e32 v255, v16, v25
	v_fma_f32 v254, v16, v24, -v0
	v_fmac_f32_e32 v255, v17, v24
	global_load_dwordx2 v[24:25], v[2:3], off offset:2880
	v_mul_f32_e32 v0, v19, v27
	v_mul_f32_e32 v1, v18, v27
	v_fma_f32 v0, v18, v26, -v0
	v_fmac_f32_e32 v1, v19, v26
	ds_read2_b64 v[16:19], v87 offset0:104 offset1:194
	s_waitcnt lgkmcnt(0)
	v_mul_f32_e32 v179, v18, v21
	v_fmac_f32_e32 v179, v19, v20
	s_waitcnt vmcnt(0)
	v_mul_f32_e32 v2, v17, v25
	v_fma_f32 v2, v16, v24, -v2
	v_mul_f32_e32 v3, v16, v25
	v_mul_f32_e32 v16, v19, v21
	v_fmac_f32_e32 v3, v17, v24
	v_fma_f32 v178, v18, v20, -v16
	ds_read2_b64 v[16:19], v55 offset0:108 offset1:198
	s_waitcnt lgkmcnt(0)
	v_mul_f32_e32 v20, v17, v189
	v_fma_f32 v250, v16, v188, -v20
	v_add_co_u32_e32 v20, vcc, s3, v244
	v_mul_f32_e32 v251, v16, v189
	s_nop 0
	v_addc_co_u32_e32 v21, vcc, 0, v245, vcc
	global_load_dwordx2 v[24:25], v[22:23], off offset:2016
	global_load_dwordx2 v[26:27], v[22:23], off offset:2736
	s_nop 0
	global_load_dwordx2 v[22:23], v[22:23], off offset:3456
	s_nop 0
	global_load_dwordx2 v[184:185], v[20:21], off offset:1344
	v_mul_f32_e32 v16, v19, v195
	v_mul_f32_e32 v217, v18, v195
	v_fmac_f32_e32 v251, v17, v188
	v_fma_f32 v216, v18, v194, -v16
	v_fmac_f32_e32 v217, v19, v194
	ds_read2_b64 v[16:19], v151 offset0:112 offset1:202
	s_mov_b32 s3, 0xa000
	s_waitcnt vmcnt(3) lgkmcnt(0)
	v_mul_f32_e32 v31, v17, v25
	v_fma_f32 v188, v16, v24, -v31
	v_mul_f32_e32 v189, v16, v25
	s_waitcnt vmcnt(2)
	v_mul_f32_e32 v16, v19, v27
	v_mul_f32_e32 v25, v18, v27
	v_fmac_f32_e32 v189, v17, v24
	v_fma_f32 v24, v18, v26, -v16
	v_fmac_f32_e32 v25, v19, v26
	ds_read2_b64 v[16:19], v139 offset0:28 offset1:118
	s_waitcnt vmcnt(0) lgkmcnt(0)
	v_mul_f32_e32 v26, v17, v185
	v_mul_f32_e32 v27, v16, v185
	v_fma_f32 v26, v16, v184, -v26
	v_fmac_f32_e32 v27, v17, v184
	v_add_co_u32_e32 v184, vcc, s3, v244
	s_nop 1
	v_addc_co_u32_e32 v185, vcc, 0, v245, vcc
	global_load_dwordx2 v[16:17], v[20:21], off offset:2064
	global_load_dwordx2 v[194:195], v[20:21], off offset:2784
	s_nop 0
	global_load_dwordx2 v[20:21], v[20:21], off offset:3504
	s_nop 0
	global_load_dwordx2 v[202:203], v[184:185], off offset:80
	global_load_dwordx2 v[206:207], v[176:177], off offset:352
	;; [unrolled: 1-line block ×4, first 2 shown]
	s_nop 0
	global_load_dwordx2 v[176:177], v[176:177], off offset:2512
	s_waitcnt vmcnt(7)
	v_mul_f32_e32 v31, v19, v17
	v_mul_f32_e32 v205, v18, v17
	v_fma_f32 v204, v18, v16, -v31
	v_fmac_f32_e32 v205, v19, v16
	ds_read2_b64 v[16:19], v190 offset0:160 offset1:250
	s_waitcnt vmcnt(3) lgkmcnt(0)
	v_mul_f32_e32 v31, v17, v207
	v_fma_f32 v212, v16, v206, -v31
	v_mul_f32_e32 v213, v16, v207
	s_waitcnt vmcnt(2)
	v_mul_f32_e32 v16, v19, v209
	v_mul_f32_e32 v207, v18, v209
	v_fmac_f32_e32 v213, v17, v206
	v_fma_f32 v206, v18, v208, -v16
	v_fmac_f32_e32 v207, v19, v208
	ds_read2_b64 v[16:19], v191 offset0:36 offset1:126
	s_waitcnt lgkmcnt(0)
	v_mul_f32_e32 v31, v17, v23
	v_fma_f32 v208, v16, v22, -v31
	v_mul_f32_e32 v209, v16, v23
	v_mul_f32_e32 v16, v19, v203
	;; [unrolled: 1-line block ×3, first 2 shown]
	v_fmac_f32_e32 v209, v17, v22
	v_fma_f32 v22, v18, v202, -v16
	v_fmac_f32_e32 v23, v19, v202
	ds_read2_b64 v[16:19], v111 offset0:80 offset1:170
	s_waitcnt lgkmcnt(0)
	v_mul_f32_e32 v31, v17, v195
	v_fma_f32 v202, v16, v194, -v31
	v_mul_f32_e32 v203, v16, v195
	v_mul_f32_e32 v16, v19, v21
	;; [unrolled: 1-line block ×3, first 2 shown]
	v_fmac_f32_e32 v203, v17, v194
	v_fma_f32 v194, v18, v20, -v16
	v_fmac_f32_e32 v195, v19, v20
	ds_read2_b64 v[16:19], v79 offset0:84 offset1:174
	s_waitcnt vmcnt(1) lgkmcnt(0)
	v_mul_f32_e32 v20, v17, v211
	v_fma_f32 v20, v16, v210, -v20
	v_mul_f32_e32 v21, v16, v211
	s_waitcnt vmcnt(0)
	v_mul_f32_e32 v16, v19, v177
	v_mul_f32_e32 v211, v18, v177
	v_fmac_f32_e32 v21, v17, v210
	v_fma_f32 v210, v18, v176, -v16
	v_fmac_f32_e32 v211, v19, v176
	global_load_dwordx2 v[176:177], v[184:185], off offset:800
	s_nop 0
	global_load_dwordx2 v[184:185], v[184:185], off offset:1520
	ds_read2_b64 v[16:19], v63 offset0:88 offset1:178
	ds_write2_b64 v196, v[4:5], v[10:11] offset0:90 offset1:180
	ds_write2_b64 v51, v[186:187], v[14:15] offset0:94 offset1:184
	;; [unrolled: 1-line block ×9, first 2 shown]
	v_mov_b32_e32 v167, v43
	s_waitcnt vmcnt(1) lgkmcnt(9)
	v_mul_f32_e32 v31, v17, v177
	v_mul_f32_e32 v215, v16, v177
	v_fma_f32 v214, v16, v176, -v31
	v_fmac_f32_e32 v215, v17, v176
	s_waitcnt vmcnt(0)
	v_mul_f32_e32 v16, v19, v185
	v_mul_f32_e32 v17, v18, v185
	v_fma_f32 v16, v18, v184, -v16
	v_fmac_f32_e32 v17, v19, v184
	ds_write2_b64 v139, v[204:205], v[202:203] offset0:118 offset1:208
	ds_write2_b64 v171, v[206:207], v[20:21] offset0:122 offset1:212
	;; [unrolled: 1-line block ×5, first 2 shown]
	ds_write_b64 v196, v[16:17] offset:20880
	s_waitcnt lgkmcnt(0)
	s_barrier
	ds_read2_b64 v[0:3], v43 offset0:52 offset1:142
	ds_read2_b64 v[4:7], v35 offset0:56 offset1:146
	;; [unrolled: 1-line block ×3, first 2 shown]
	v_accvgpr_read_b32 v31, a65
	s_waitcnt lgkmcnt(1)
	v_pk_add_f32 v[12:13], v[0:1], v[4:5]
	s_waitcnt lgkmcnt(0)
	v_pk_add_f32 v[14:15], v[4:5], v[8:9]
	v_pk_add_f32 v[16:17], v[4:5], v[8:9] neg_lo:[0,1] neg_hi:[0,1]
	v_pk_add_f32 v[4:5], v[2:3], v[6:7]
	v_pk_add_f32 v[18:19], v[6:7], v[10:11]
	v_pk_add_f32 v[20:21], v[6:7], v[10:11] neg_lo:[0,1] neg_hi:[0,1]
	v_pk_add_f32 v[22:23], v[12:13], v[8:9]
	v_pk_add_f32 v[24:25], v[4:5], v[10:11]
	v_pk_fma_f32 v[26:27], v[14:15], 0.5, v[0:1] op_sel_hi:[1,0,1] neg_lo:[1,0,0] neg_hi:[1,0,0]
	v_pk_fma_f32 v[18:19], v[18:19], 0.5, v[2:3] op_sel_hi:[1,0,1] neg_lo:[1,0,0] neg_hi:[1,0,0]
	ds_read2_b64 v[0:3], v87 offset0:104 offset1:194
	ds_read2_b64 v[4:7], v55 offset0:108 offset1:198
	ds_read2_b64 v[8:11], v151 offset0:112 offset1:202
	s_waitcnt lgkmcnt(1)
	v_pk_add_f32 v[12:13], v[0:1], v[4:5]
	s_waitcnt lgkmcnt(0)
	v_pk_add_f32 v[14:15], v[4:5], v[8:9]
	v_pk_add_f32 v[176:177], v[4:5], v[8:9] neg_lo:[0,1] neg_hi:[0,1]
	v_pk_add_f32 v[4:5], v[2:3], v[6:7]
	v_pk_add_f32 v[178:179], v[6:7], v[10:11]
	v_pk_add_f32 v[184:185], v[6:7], v[10:11] neg_lo:[0,1] neg_hi:[0,1]
	v_pk_add_f32 v[186:187], v[12:13], v[8:9]
	v_pk_add_f32 v[188:189], v[4:5], v[10:11]
	v_pk_fma_f32 v[192:193], v[14:15], 0.5, v[0:1] op_sel_hi:[1,0,1] neg_lo:[1,0,0] neg_hi:[1,0,0]
	v_pk_fma_f32 v[178:179], v[178:179], 0.5, v[2:3] op_sel_hi:[1,0,1] neg_lo:[1,0,0] neg_hi:[1,0,0]
	ds_read2_b64 v[0:3], v139 offset0:28 offset1:118
	ds_read2_b64 v[4:7], v190 offset0:160 offset1:250
	ds_read2_b64 v[8:11], v191 offset0:36 offset1:126
	;; [unrolled: 15-line block ×3, first 2 shown]
	s_waitcnt lgkmcnt(1)
	v_pk_add_f32 v[12:13], v[0:1], v[4:5]
	s_waitcnt lgkmcnt(0)
	v_pk_add_f32 v[212:213], v[4:5], v[8:9]
	v_pk_add_f32 v[214:215], v[4:5], v[8:9] neg_lo:[0,1] neg_hi:[0,1]
	v_pk_add_f32 v[4:5], v[2:3], v[6:7]
	v_pk_add_f32 v[216:217], v[6:7], v[10:11]
	v_pk_add_f32 v[218:219], v[6:7], v[10:11] neg_lo:[0,1] neg_hi:[0,1]
	v_pk_add_f32 v[220:221], v[12:13], v[8:9]
	v_pk_add_f32 v[222:223], v[4:5], v[10:11]
	ds_read2_b64 v[4:7], v196 offset1:90
	ds_read2_b64 v[8:11], v95 offset0:132 offset1:222
	ds_read2_b64 v[12:15], v163 offset0:8 offset1:98
	s_waitcnt lgkmcnt(0)
	s_barrier
	v_pk_add_f32 v[228:229], v[4:5], v[8:9]
	v_pk_add_f32 v[230:231], v[8:9], v[12:13]
	v_pk_add_f32 v[8:9], v[8:9], v[12:13] neg_lo:[0,1] neg_hi:[0,1]
	v_pk_add_f32 v[224:225], v[6:7], v[10:11]
	v_pk_fma_f32 v[4:5], v[230:231], 0.5, v[4:5] op_sel_hi:[1,0,1] neg_lo:[1,0,0] neg_hi:[1,0,0]
	v_pk_mul_f32 v[8:9], v[8:9], s[2:3] op_sel_hi:[1,0]
	v_pk_add_f32 v[226:227], v[10:11], v[14:15]
	v_pk_add_f32 v[10:11], v[10:11], v[14:15] neg_lo:[0,1] neg_hi:[0,1]
	v_pk_add_f32 v[14:15], v[224:225], v[14:15]
	v_pk_add_f32 v[224:225], v[4:5], v[8:9] op_sel:[0,1] op_sel_hi:[1,0] neg_lo:[0,1] neg_hi:[0,1]
	v_pk_add_f32 v[4:5], v[4:5], v[8:9] op_sel:[0,1] op_sel_hi:[1,0]
	v_pk_add_f32 v[12:13], v[228:229], v[12:13]
	v_mov_b32_e32 v9, v5
	v_mov_b32_e32 v5, v225
	v_pk_fma_f32 v[6:7], v[226:227], 0.5, v[6:7] op_sel_hi:[1,0,1] neg_lo:[1,0,0] neg_hi:[1,0,0]
	v_mov_b32_e32 v8, v224
	ds_write_b64 v31, v[4:5] offset:16
	v_pk_mul_f32 v[4:5], v[10:11], s[2:3] op_sel_hi:[1,0]
	ds_write2_b64 v31, v[12:13], v[8:9] offset1:1
	v_pk_add_f32 v[8:9], v[6:7], v[4:5] op_sel:[0,1] op_sel_hi:[1,0] neg_lo:[0,1] neg_hi:[0,1]
	v_pk_add_f32 v[4:5], v[6:7], v[4:5] op_sel:[0,1] op_sel_hi:[1,0]
	v_mov_b32_e32 v6, v8
	v_mov_b32_e32 v7, v5
	v_accvgpr_read_b32 v8, a69
	v_mov_b32_e32 v5, v9
	ds_write_b64 v8, v[4:5] offset:16
	v_pk_mul_f32 v[4:5], v[16:17], s[2:3] op_sel_hi:[1,0]
	ds_write2_b64 v8, v[14:15], v[6:7] offset1:1
	v_pk_add_f32 v[6:7], v[26:27], v[4:5] op_sel:[0,1] op_sel_hi:[1,0] neg_lo:[0,1] neg_hi:[0,1]
	v_pk_add_f32 v[4:5], v[26:27], v[4:5] op_sel:[0,1] op_sel_hi:[1,0]
	v_mov_b32_e32 v8, v6
	v_mov_b32_e32 v9, v5
	v_accvgpr_read_b32 v6, a73
	;; [unrolled: 9-line block ×7, first 2 shown]
	v_mov_b32_e32 v5, v7
	ds_write_b64 v6, v[4:5] offset:16
	v_pk_fma_f32 v[0:1], v[212:213], 0.5, v[0:1] op_sel_hi:[1,0,1] neg_lo:[1,0,0] neg_hi:[1,0,0]
	v_pk_mul_f32 v[4:5], v[214:215], s[2:3] op_sel_hi:[1,0]
	ds_write2_b64 v6, v[208:209], v[8:9] offset1:1
	v_pk_add_f32 v[6:7], v[0:1], v[4:5] op_sel:[0,1] op_sel_hi:[1,0] neg_lo:[0,1] neg_hi:[0,1]
	v_pk_add_f32 v[0:1], v[0:1], v[4:5] op_sel:[0,1] op_sel_hi:[1,0]
	v_mov_b32_e32 v4, v6
	v_mov_b32_e32 v5, v1
	v_accvgpr_read_b32 v6, a85
	v_mov_b32_e32 v1, v7
	v_pk_fma_f32 v[2:3], v[216:217], 0.5, v[2:3] op_sel_hi:[1,0,1] neg_lo:[1,0,0] neg_hi:[1,0,0]
	ds_write_b64 v6, v[0:1] offset:16
	v_pk_mul_f32 v[0:1], v[218:219], s[2:3] op_sel_hi:[1,0]
	ds_write2_b64 v6, v[220:221], v[4:5] offset1:1
	v_pk_add_f32 v[4:5], v[2:3], v[0:1] op_sel:[0,1] op_sel_hi:[1,0] neg_lo:[0,1] neg_hi:[0,1]
	v_pk_add_f32 v[0:1], v[2:3], v[0:1] op_sel:[0,1] op_sel_hi:[1,0]
	v_mov_b32_e32 v2, v4
	v_mov_b32_e32 v3, v1
	v_accvgpr_read_b32 v4, a86
	v_mov_b32_e32 v1, v5
	ds_write2_b64 v4, v[222:223], v[2:3] offset1:1
	ds_write_b64 v4, v[0:1] offset:16
	s_waitcnt lgkmcnt(0)
	s_barrier
	ds_read2_b64 v[0:3], v63 offset0:88 offset1:178
	s_waitcnt lgkmcnt(0)
	v_pk_mul_f32 v[4:5], v[180:181], v[2:3] op_sel:[1,0]
	s_nop 0
	v_pk_fma_f32 v[186:187], v[180:181], v[2:3], v[4:5] op_sel:[0,0,1] op_sel_hi:[1,1,0]
	v_pk_fma_f32 v[180:181], v[180:181], v[2:3], v[4:5] op_sel:[0,0,1] op_sel_hi:[0,1,0] neg_lo:[0,0,1] neg_hi:[0,0,1]
	v_pk_mul_f32 v[2:3], v[246:247], v[0:1] op_sel:[1,0]
	v_mov_b32_e32 v187, v181
	v_pk_fma_f32 v[244:245], v[246:247], v[0:1], v[2:3] op_sel:[0,0,1] op_sel_hi:[1,1,0]
	v_pk_fma_f32 v[246:247], v[246:247], v[0:1], v[2:3] op_sel:[0,0,1] op_sel_hi:[0,1,0] neg_lo:[0,0,1] neg_hi:[0,0,1]
	ds_read2_b64 v[0:3], v191 offset0:36 offset1:126
	v_mov_b32_e32 v245, v247
	s_waitcnt lgkmcnt(0)
	v_pk_mul_f32 v[4:5], v[182:183], v[2:3] op_sel:[1,0]
	s_nop 0
	v_pk_fma_f32 v[216:217], v[182:183], v[2:3], v[4:5] op_sel:[0,0,1] op_sel_hi:[1,1,0]
	v_pk_fma_f32 v[178:179], v[182:183], v[2:3], v[4:5] op_sel:[0,0,1] op_sel_hi:[0,1,0] neg_lo:[0,0,1] neg_hi:[0,0,1]
	v_accvgpr_read_b32 v2, a160
	v_pk_mul_f32 v[2:3], v[2:3], v[0:1] op_sel_hi:[0,1]
	v_pk_fma_f32 v[182:183], v[46:47], v[0:1], v[2:3] op_sel:[0,0,1] op_sel_hi:[1,1,0]
	v_pk_fma_f32 v[22:23], v[46:47], v[0:1], v[2:3] op_sel:[0,0,1] op_sel_hi:[0,1,0] neg_lo:[0,0,1] neg_hi:[0,0,1]
	ds_read2_b64 v[0:3], v39 offset0:60 offset1:150
	v_accvgpr_read_b32 v178, a72
	v_accvgpr_read_b32 v177, a71
	;; [unrolled: 1-line block ×3, first 2 shown]
	v_mov_b32_e32 v183, v23
	s_waitcnt lgkmcnt(0)
	v_pk_mul_f32 v[4:5], v[44:45], v[2:3] op_sel:[1,0]
	v_mov_b32_e32 v217, v179
	v_pk_fma_f32 v[46:47], v[44:45], v[2:3], v[4:5] op_sel:[0,0,1] op_sel_hi:[1,1,0]
	v_pk_fma_f32 v[4:5], v[44:45], v[2:3], v[4:5] op_sel:[0,0,1] op_sel_hi:[0,1,0] neg_lo:[0,0,1] neg_hi:[0,0,1]
	v_pk_mul_f32 v[2:3], v[48:49], v[0:1] op_sel:[1,0]
	v_accvgpr_read_b32 v4, a148
	v_pk_fma_f32 v[254:255], v[48:49], v[0:1], v[2:3] op_sel:[0,0,1] op_sel_hi:[1,1,0]
	v_pk_fma_f32 v[252:253], v[48:49], v[0:1], v[2:3] op_sel:[0,0,1] op_sel_hi:[0,1,0] neg_lo:[0,0,1] neg_hi:[0,0,1]
	ds_read2_b64 v[0:3], v151 offset0:112 offset1:202
	v_mov_b32_e32 v255, v253
	v_mov_b32_e32 v47, v5
	s_waitcnt lgkmcnt(0)
	v_pk_mul_f32 v[6:7], v[4:5], v[2:3] op_sel_hi:[0,1]
	v_pk_fma_f32 v[192:193], v[50:51], v[2:3], v[6:7] op_sel:[0,0,1] op_sel_hi:[1,1,0]
	v_pk_fma_f32 v[2:3], v[50:51], v[2:3], v[6:7] op_sel:[0,0,1] op_sel_hi:[0,1,0] neg_lo:[0,0,1] neg_hi:[0,0,1]
	v_mov_b32_e32 v2, v127
	v_mov_b32_e32 v193, v3
	v_pk_mul_f32 v[2:3], v[2:3], v[0:1] op_sel_hi:[0,1]
	v_pk_fma_f32 v[250:251], v[126:127], v[0:1], v[2:3] op_sel:[0,0,1] op_sel_hi:[1,1,0]
	v_pk_fma_f32 v[26:27], v[126:127], v[0:1], v[2:3] op_sel:[0,0,1] op_sel_hi:[0,1,0] neg_lo:[0,0,1] neg_hi:[0,0,1]
	ds_read2_b64 v[0:3], v163 offset0:8 offset1:98
	v_accvgpr_read_b32 v4, a128
	v_mov_b32_e32 v251, v27
	s_waitcnt lgkmcnt(0)
	v_pk_mul_f32 v[6:7], v[124:125], v[2:3] op_sel:[1,0]
	s_nop 0
	v_pk_fma_f32 v[184:185], v[124:125], v[2:3], v[6:7] op_sel:[0,0,1] op_sel_hi:[1,1,0]
	v_pk_fma_f32 v[194:195], v[124:125], v[2:3], v[6:7] op_sel:[0,0,1] op_sel_hi:[0,1,0] neg_lo:[0,0,1] neg_hi:[0,0,1]
	v_mov_b32_e32 v2, v201
	v_pk_mul_f32 v[2:3], v[2:3], v[0:1] op_sel_hi:[0,1]
	v_pk_fma_f32 v[44:45], v[200:201], v[0:1], v[2:3] op_sel:[0,0,1] op_sel_hi:[1,1,0]
	v_pk_fma_f32 v[202:203], v[200:201], v[0:1], v[2:3] op_sel:[0,0,1] op_sel_hi:[0,1,0] neg_lo:[0,0,1] neg_hi:[0,0,1]
	ds_read2_b64 v[0:3], v190 offset0:160 offset1:250
	v_mov_b32_e32 v45, v203
	v_pk_add_f32 v[22:23], v[182:183], v[44:45] neg_lo:[0,1] neg_hi:[0,1]
	v_mov_b32_e32 v203, v216
	v_mov_b32_e32 v185, v195
	s_waitcnt lgkmcnt(0)
	v_pk_mul_f32 v[6:7], v[198:199], v[2:3] op_sel:[1,0]
	s_nop 0
	v_pk_fma_f32 v[48:49], v[198:199], v[2:3], v[6:7] op_sel:[0,0,1] op_sel_hi:[1,1,0]
	v_pk_fma_f32 v[218:219], v[198:199], v[2:3], v[6:7] op_sel:[0,0,1] op_sel_hi:[0,1,0] neg_lo:[0,0,1] neg_hi:[0,0,1]
	v_pk_mul_f32 v[2:3], v[28:29], v[0:1] op_sel:[1,0]
	v_mov_b32_e32 v49, v219
	v_pk_fma_f32 v[8:9], v[28:29], v[0:1], v[2:3] op_sel:[0,0,1] op_sel_hi:[1,1,0]
	v_pk_fma_f32 v[10:11], v[28:29], v[0:1], v[2:3] op_sel:[0,0,1] op_sel_hi:[0,1,0] neg_lo:[0,0,1] neg_hi:[0,0,1]
	ds_read2_b64 v[0:3], v79 offset0:84 offset1:174
	v_mov_b32_e32 v252, v11
	v_accvgpr_read_b32 v79, a87
	s_waitcnt lgkmcnt(0)
	v_pk_mul_f32 v[6:7], v[4:5], v[2:3] op_sel_hi:[0,1]
	v_pk_fma_f32 v[50:51], v[30:31], v[2:3], v[6:7] op_sel:[0,0,1] op_sel_hi:[1,1,0]
	v_pk_fma_f32 v[14:15], v[30:31], v[2:3], v[6:7] op_sel:[0,0,1] op_sel_hi:[0,1,0] neg_lo:[0,0,1] neg_hi:[0,0,1]
	v_mov_b32_e32 v2, v115
	v_pk_mul_f32 v[2:3], v[2:3], v[0:1] op_sel_hi:[0,1]
	v_pk_fma_f32 v[204:205], v[114:115], v[0:1], v[2:3] op_sel:[0,0,1] op_sel_hi:[1,1,0]
	v_pk_fma_f32 v[28:29], v[114:115], v[0:1], v[2:3] op_sel:[0,0,1] op_sel_hi:[0,1,0] neg_lo:[0,0,1] neg_hi:[0,0,1]
	ds_read2_b64 v[0:3], v55 offset0:108 offset1:198
	v_accvgpr_read_b32 v12, a78
	v_accvgpr_read_b32 v14, a80
	;; [unrolled: 1-line block ×4, first 2 shown]
	s_waitcnt lgkmcnt(0)
	v_pk_mul_f32 v[6:7], v[112:113], v[2:3] op_sel:[1,0]
	v_mov_b32_e32 v205, v29
	v_pk_fma_f32 v[30:31], v[112:113], v[2:3], v[6:7] op_sel:[0,0,1] op_sel_hi:[1,1,0]
	v_pk_fma_f32 v[198:199], v[112:113], v[2:3], v[6:7] op_sel:[0,0,1] op_sel_hi:[0,1,0] neg_lo:[0,0,1] neg_hi:[0,0,1]
	v_accvgpr_read_b32 v2, a122
	v_pk_mul_f32 v[2:3], v[2:3], v[0:1] op_sel_hi:[0,1]
	v_pk_fma_f32 v[24:25], v[14:15], v[0:1], v[2:3] op_sel:[0,0,1] op_sel_hi:[1,1,0]
	v_pk_fma_f32 v[206:207], v[14:15], v[0:1], v[2:3] op_sel:[0,0,1] op_sel_hi:[0,1,0] neg_lo:[0,0,1] neg_hi:[0,0,1]
	ds_read2_b64 v[0:3], v95 offset0:132 offset1:222
	v_mov_b32_e32 v25, v207
	v_mov_b32_e32 v206, v30
	;; [unrolled: 1-line block ×4, first 2 shown]
	s_waitcnt lgkmcnt(0)
	v_pk_mul_f32 v[6:7], v[12:13], v[2:3] op_sel:[1,0]
	v_mov_b32_e32 v194, v199
	v_pk_fma_f32 v[18:19], v[12:13], v[2:3], v[6:7] op_sel:[0,0,1] op_sel_hi:[1,1,0]
	v_pk_fma_f32 v[188:189], v[12:13], v[2:3], v[6:7] op_sel:[0,0,1] op_sel_hi:[0,1,0] neg_lo:[0,0,1] neg_hi:[0,0,1]
	v_accvgpr_read_b32 v12, a94
	v_accvgpr_read_b32 v13, a95
	v_pk_mul_f32 v[2:3], v[12:13], v[0:1] op_sel:[1,0]
	v_accvgpr_read_b32 v14, a96
	v_pk_fma_f32 v[114:115], v[12:13], v[0:1], v[2:3] op_sel:[0,0,1] op_sel_hi:[1,1,0]
	v_pk_fma_f32 v[124:125], v[12:13], v[0:1], v[2:3] op_sel:[0,0,1] op_sel_hi:[0,1,0] neg_lo:[0,0,1] neg_hi:[0,0,1]
	ds_read2_b64 v[0:3], v35 offset0:56 offset1:146
	v_pk_add_f32 v[228:229], v[30:31], v[184:185] neg_lo:[0,1] neg_hi:[0,1]
	v_pk_add_f32 v[26:27], v[250:251], v[204:205] neg_lo:[0,1] neg_hi:[0,1]
	v_accvgpr_read_b32 v19, a97
	v_mov_b32_e32 v51, v15
	s_waitcnt lgkmcnt(0)
	v_pk_mul_f32 v[6:7], v[4:5], v[2:3] op_sel_hi:[0,1]
	v_pk_fma_f32 v[112:113], v[14:15], v[2:3], v[6:7] op_sel:[0,0,1] op_sel_hi:[1,1,0]
	v_pk_fma_f32 v[12:13], v[14:15], v[2:3], v[6:7] op_sel:[0,0,1] op_sel_hi:[0,1,0] neg_lo:[0,0,1] neg_hi:[0,0,1]
	v_accvgpr_read_b32 v2, a114
	v_pk_mul_f32 v[2:3], v[2:3], v[0:1] op_sel_hi:[0,1]
	v_pk_fma_f32 v[208:209], v[62:63], v[0:1], v[2:3] op_sel:[0,0,1] op_sel_hi:[1,1,0]
	v_pk_fma_f32 v[210:211], v[62:63], v[0:1], v[2:3] op_sel:[0,0,1] op_sel_hi:[0,1,0] neg_lo:[0,0,1] neg_hi:[0,0,1]
	ds_read2_b64 v[0:3], v111 offset0:80 offset1:170
	v_accvgpr_read_b32 v4, a98
	v_mov_b32_e32 v209, v211
	v_pk_add_f32 v[236:237], v[208:209], v[204:205] neg_lo:[0,1] neg_hi:[0,1]
	v_mov_b32_e32 v113, v13
	s_waitcnt lgkmcnt(0)
	v_pk_mul_f32 v[6:7], v[60:61], v[2:3] op_sel:[1,0]
	v_mov_b32_e32 v13, v244
	v_pk_fma_f32 v[212:213], v[60:61], v[2:3], v[6:7] op_sel:[0,0,1] op_sel_hi:[1,1,0]
	v_pk_fma_f32 v[214:215], v[60:61], v[2:3], v[6:7] op_sel:[0,0,1] op_sel_hi:[0,1,0] neg_lo:[0,0,1] neg_hi:[0,0,1]
	v_accvgpr_read_b32 v2, a106
	v_accvgpr_read_b32 v60, a66
	v_pk_mul_f32 v[2:3], v[2:3], v[0:1] op_sel_hi:[0,1]
	v_accvgpr_read_b32 v62, a68
	v_pk_fma_f32 v[16:17], v[62:63], v[0:1], v[2:3] op_sel:[0,0,1] op_sel_hi:[1,1,0]
	v_pk_fma_f32 v[220:221], v[62:63], v[0:1], v[2:3] op_sel:[0,0,1] op_sel_hi:[0,1,0] neg_lo:[0,0,1] neg_hi:[0,0,1]
	ds_read2_b64 v[0:3], v87 offset0:104 offset1:194
	v_accvgpr_read_b32 v61, a67
	v_mov_b32_e32 v17, v221
	v_mov_b32_e32 v202, v212
	;; [unrolled: 1-line block ×3, first 2 shown]
	s_waitcnt lgkmcnt(0)
	v_pk_mul_f32 v[20:21], v[60:61], v[2:3] op_sel:[1,0]
	v_pk_add_f32 v[220:221], v[30:31], v[184:185]
	v_pk_fma_f32 v[6:7], v[60:61], v[2:3], v[20:21] op_sel:[0,0,1] op_sel_hi:[0,1,0]
	v_pk_fma_f32 v[20:21], v[60:61], v[2:3], v[20:21] op_sel:[0,0,1] op_sel_hi:[0,1,0] neg_lo:[0,0,1] neg_hi:[0,0,1]
	v_pk_mul_f32 v[2:3], v[176:177], v[0:1] op_sel:[1,0]
	v_mov_b32_e32 v15, v254
	v_pk_fma_f32 v[126:127], v[176:177], v[0:1], v[2:3] op_sel:[0,0,1] op_sel_hi:[0,1,0]
	v_pk_fma_f32 v[60:61], v[176:177], v[0:1], v[2:3] op_sel:[0,0,1] op_sel_hi:[0,1,0] neg_lo:[0,0,1] neg_hi:[0,0,1]
	ds_read2_b64 v[0:3], v139 offset0:28 offset1:118
	v_mov_b32_e32 v127, v61
	v_mov_b32_e32 v115, v125
	v_mov_b32_e32 v246, v125
	v_mov_b32_e32 v180, v189
	s_waitcnt lgkmcnt(0)
	v_pk_mul_f32 v[200:201], v[4:5], v[2:3] op_sel_hi:[0,1]
	v_pk_fma_f32 v[62:63], v[178:179], v[2:3], v[200:201] op_sel:[0,0,1] op_sel_hi:[1,1,0]
	v_pk_fma_f32 v[200:201], v[178:179], v[2:3], v[200:201] op_sel:[0,0,1] op_sel_hi:[0,1,0] neg_lo:[0,0,1] neg_hi:[0,0,1]
	v_accvgpr_read_b32 v2, a100
	v_pk_mul_f32 v[2:3], v[2:3], v[0:1] op_sel_hi:[0,1]
	v_pk_fma_f32 v[222:223], v[42:43], v[0:1], v[2:3] op_sel:[0,0,1] op_sel_hi:[1,1,0]
	v_pk_fma_f32 v[42:43], v[42:43], v[0:1], v[2:3] op_sel:[0,0,1] op_sel_hi:[0,1,0] neg_lo:[0,0,1] neg_hi:[0,0,1]
	ds_read2_b64 v[0:3], v167 offset0:52 offset1:142
	v_mov_b32_e32 v178, v215
	v_mov_b32_e32 v223, v43
	v_pk_add_f32 v[232:233], v[222:223], v[250:251] neg_lo:[0,1] neg_hi:[0,1]
	v_mov_b32_e32 v63, v201
	s_waitcnt lgkmcnt(0)
	v_pk_mul_f32 v[224:225], v[40:41], v[2:3] op_sel:[1,0]
	v_pk_add_f32 v[124:125], v[62:63], v[112:113] neg_lo:[0,1] neg_hi:[0,1]
	v_pk_fma_f32 v[226:227], v[40:41], v[2:3], v[224:225] op_sel:[0,0,1] op_sel_hi:[0,1,0]
	v_pk_fma_f32 v[224:225], v[40:41], v[2:3], v[224:225] op_sel:[0,0,1] op_sel_hi:[0,1,0] neg_lo:[0,0,1] neg_hi:[0,0,1]
	v_pk_add_f32 v[2:3], v[16:17], v[24:25] neg_lo:[0,1] neg_hi:[0,1]
	v_mov_b32_e32 v227, v225
	v_pk_add_f32 v[2:3], v[2:3], v[22:23]
	v_pk_add_f32 v[22:23], v[202:203], v[206:207] neg_lo:[0,1] neg_hi:[0,1]
	v_fma_f32 v7, -0.5, v220, v226
	v_mov_b32_e32 v4, v23
	v_pk_add_f32 v[210:211], v[22:23], v[4:5]
	v_pk_add_f32 v[22:23], v[226:227], v[212:213]
	v_fma_f32 v9, -0.5, v221, v225
	v_pk_add_f32 v[22:23], v[22:23], v[30:31]
	v_pk_mul_f32 v[30:31], v[232:233], s[6:7] op_sel_hi:[1,0]
	v_pk_add_f32 v[184:185], v[22:23], v[184:185]
	v_pk_add_f32 v[22:23], v[178:179], v[194:195] neg_lo:[0,1] neg_hi:[0,1]
	v_mov_b32_e32 v211, v229
	v_mov_b32_e32 v4, v23
	v_pk_add_f32 v[214:215], v[22:23], v[4:5]
	v_pk_add_f32 v[22:23], v[222:223], v[208:209] neg_lo:[0,1] neg_hi:[0,1]
	v_pk_add_f32 v[220:221], v[212:213], v[216:217] neg_lo:[0,1] neg_hi:[0,1]
	v_pk_add_f32 v[230:231], v[22:23], v[26:27]
	ds_read2_b64 v[26:29], v196 offset1:90
	v_pk_add_f32 v[22:23], v[208:209], v[204:205]
	v_fmamk_f32 v4, v221, 0xbf737871, v7
	v_mov_b32_e32 v215, v228
	v_pk_add_f32 v[184:185], v[184:185], v[216:217]
	s_waitcnt lgkmcnt(0)
	v_pk_fma_f32 v[22:23], v[22:23], 0.5, v[26:27] op_sel_hi:[1,0,1] neg_lo:[1,0,0] neg_hi:[1,0,0]
	s_nop 0
	v_pk_add_f32 v[234:235], v[22:23], v[30:31] op_sel:[0,1] op_sel_hi:[1,0] neg_lo:[0,1] neg_hi:[0,1]
	v_pk_add_f32 v[22:23], v[22:23], v[30:31] op_sel:[0,1] op_sel_hi:[1,0]
	v_pk_add_f32 v[30:31], v[24:25], v[44:45]
	s_barrier
	v_pk_fma_f32 v[40:41], v[30:31], 0.5, v[0:1] op_sel_hi:[1,0,1] neg_lo:[1,0,0] neg_hi:[1,0,0]
	v_pk_add_f32 v[30:31], v[16:17], v[182:183] neg_lo:[0,1] neg_hi:[0,1]
	s_nop 0
	v_pk_fma_f32 v[198:199], v[30:31], s[6:7], v[40:41] op_sel:[1,0,0] op_sel_hi:[0,0,1]
	v_pk_fma_f32 v[42:43], v[30:31], s[6:7], v[40:41] op_sel:[1,0,0] op_sel_hi:[0,0,1] neg_lo:[1,0,0] neg_hi:[1,0,0]
	v_pk_add_f32 v[40:41], v[24:25], v[44:45] neg_lo:[0,1] neg_hi:[0,1]
	s_mov_b32 s7, s12
	v_pk_fma_f32 v[42:43], v[40:41], s[8:9], v[42:43] op_sel:[1,0,0] op_sel_hi:[0,0,1] neg_lo:[1,0,0] neg_hi:[1,0,0]
	v_pk_fma_f32 v[198:199], v[40:41], s[8:9], v[198:199] op_sel:[1,0,0] op_sel_hi:[0,0,1]
	s_mov_b32 s9, s14
	v_pk_mul_f32 v[238:239], v[236:237], s[8:9] op_sel_hi:[1,0]
	v_fmac_f32_e32 v7, 0x3f737871, v221
	v_pk_add_f32 v[240:241], v[22:23], v[238:239] op_sel:[0,1] op_sel_hi:[1,0]
	v_mov_b32_e32 v22, v198
	v_mov_b32_e32 v23, v43
	v_pk_fma_f32 v[22:23], v[2:3], s[12:13], v[22:23] op_sel_hi:[1,0,1]
	s_mov_b32 s13, s8
	v_pk_mul_f32 v[210:211], v[210:211], s[12:13]
	v_pk_mul_f32 v[214:215], v[214:215], s[12:13]
	v_sub_f32_e32 v10, v4, v211
	v_fmamk_f32 v4, v220, 0x3f737871, v9
	v_add_f32_e32 v4, v215, v4
	v_add_f32_e32 v4, v214, v4
	v_pk_add_f32 v[234:235], v[234:235], v[238:239] op_sel:[0,1] op_sel_hi:[1,0] neg_lo:[0,1] neg_hi:[0,1]
	v_pk_mul_f32 v[238:239], v[4:5], s[8:9] op_sel_hi:[0,1]
	v_add_f32_e32 v4, v210, v10
	v_pk_fma_f32 v[242:243], v[4:5], s[14:15], v[238:239] neg_lo:[0,0,1] neg_hi:[0,0,1]
	v_pk_fma_f32 v[238:239], v[4:5], s[14:15], v[238:239] op_sel_hi:[0,1,1]
	v_mov_b32_e32 v243, v239
	v_pk_add_f32 v[238:239], v[26:27], v[222:223]
	v_mov_b32_e32 v248, v234
	v_pk_add_f32 v[238:239], v[238:239], v[208:209]
	;; [unrolled: 2-line block ×3, first 2 shown]
	v_pk_fma_f32 v[248:249], v[230:231], s[12:13], v[248:249] op_sel_hi:[1,0,1]
	v_pk_add_f32 v[238:239], v[238:239], v[250:251]
	v_pk_add_f32 v[176:177], v[248:249], v[242:243]
	;; [unrolled: 1-line block ×3, first 2 shown]
	ds_write2_b64 v19, v[190:191], v[176:177] offset1:3
	v_pk_add_f32 v[176:177], v[212:213], v[216:217]
	v_pk_add_f32 v[190:191], v[206:207], v[202:203] neg_lo:[0,1] neg_hi:[0,1]
	v_mov_b32_e32 v10, v226
	v_mov_b32_e32 v4, v191
	v_fmac_f32_e32 v10, -0.5, v176
	v_fmac_f32_e32 v225, -0.5, v177
	v_pk_add_f32 v[176:177], v[194:195], v[178:179] neg_lo:[0,1] neg_hi:[0,1]
	v_pk_add_f32 v[190:191], v[190:191], v[4:5]
	v_mov_b32_e32 v4, v177
	v_pk_add_f32 v[176:177], v[176:177], v[4:5]
	v_mov_b32_e32 v191, v221
	v_mov_b32_e32 v177, v220
	v_fmamk_f32 v4, v229, 0x3f737871, v10
	v_fmamk_f32 v12, v228, 0xbf737871, v225
	v_pk_mul_f32 v[190:191], v[190:191], s[12:13]
	v_pk_mul_f32 v[176:177], v[176:177], s[12:13]
	v_sub_f32_e32 v14, v4, v191
	v_add_f32_e32 v4, v177, v12
	v_pk_add_f32 v[178:179], v[208:209], v[222:223] neg_lo:[0,1] neg_hi:[0,1]
	v_pk_add_f32 v[202:203], v[204:205], v[250:251] neg_lo:[0,1] neg_hi:[0,1]
	v_add_f32_e32 v4, v176, v4
	v_pk_add_f32 v[194:195], v[222:223], v[250:251]
	v_pk_add_f32 v[178:179], v[178:179], v[202:203]
	v_pk_mul_f32 v[202:203], v[4:5], s[6:7] op_sel_hi:[0,1]
	v_add_f32_e32 v4, v190, v14
	v_fmac_f32_e32 v10, 0xbf737871, v229
	v_fmac_f32_e32 v225, 0x3f737871, v228
	v_pk_fma_f32 v[204:205], v[4:5], s[10:11], v[202:203] neg_lo:[0,0,1] neg_hi:[0,0,1]
	v_pk_fma_f32 v[202:203], v[4:5], s[10:11], v[202:203] op_sel_hi:[0,1,1]
	v_pk_fma_f32 v[26:27], v[194:195], 0.5, v[26:27] op_sel_hi:[1,0,1] neg_lo:[1,0,0] neg_hi:[1,0,0]
	v_pk_mul_f32 v[194:195], v[236:237], s[6:7] op_sel_hi:[1,0]
	v_mov_b32_e32 v205, v203
	v_pk_add_f32 v[202:203], v[26:27], v[194:195] op_sel:[0,1] op_sel_hi:[1,0]
	v_pk_add_f32 v[26:27], v[26:27], v[194:195] op_sel:[0,1] op_sel_hi:[1,0] neg_lo:[0,1] neg_hi:[0,1]
	v_pk_mul_f32 v[194:195], v[232:233], s[8:9] op_sel_hi:[1,0]
	v_add_f32_e32 v4, v191, v10
	v_sub_f32_e32 v10, v225, v177
	v_pk_add_f32 v[26:27], v[26:27], v[194:195] op_sel:[0,1] op_sel_hi:[1,0]
	v_pk_add_f32 v[194:195], v[202:203], v[194:195] op_sel:[0,1] op_sel_hi:[1,0] neg_lo:[0,1] neg_hi:[0,1]
	v_add_f32_e32 v10, v176, v10
	v_add_f32_e32 v4, v190, v4
	v_pk_mul_f32 v[176:177], v[10:11], s[6:7] op_sel_hi:[0,1]
	v_mov_b32_e32 v190, v194
	v_mov_b32_e32 v191, v27
	;; [unrolled: 1-line block ×3, first 2 shown]
	v_fmac_f32_e32 v9, 0xbf737871, v220
	v_pk_fma_f32 v[176:177], v[4:5], s[16:17], v[176:177] op_sel_hi:[0,1,1] neg_lo:[0,0,1] neg_hi:[0,0,1]
	v_pk_fma_f32 v[190:191], v[178:179], s[12:13], v[190:191] op_sel_hi:[1,0,1]
	v_pk_fma_f32 v[26:27], v[178:179], s[12:13], v[26:27] op_sel_hi:[1,0,1]
	v_add_f32_e32 v4, v211, v7
	v_sub_f32_e32 v7, v9, v215
	v_pk_add_f32 v[178:179], v[190:191], v[204:205]
	v_pk_add_f32 v[194:195], v[26:27], v[176:177]
	v_accvgpr_read_b32 v12, a97
	v_add_f32_e32 v10, v214, v7
	ds_write2_b64 v12, v[178:179], v[194:195] offset0:6 offset1:9
	v_add_f32_e32 v4, v210, v4
	v_pk_mul_f32 v[178:179], v[10:11], s[8:9] op_sel_hi:[0,1]
	v_mov_b32_e32 v241, v235
	v_pk_fma_f32 v[178:179], v[4:5], s[18:19], v[178:179] op_sel_hi:[0,1,1] neg_lo:[0,0,1] neg_hi:[0,0,1]
	v_pk_fma_f32 v[194:195], v[230:231], s[12:13], v[240:241] op_sel_hi:[1,0,1]
	v_pk_add_f32 v[184:185], v[238:239], v[184:185] neg_lo:[0,1] neg_hi:[0,1]
	v_pk_add_f32 v[202:203], v[194:195], v[178:179]
	v_accvgpr_read_b32 v4, a97
	v_pk_add_f32 v[26:27], v[26:27], v[176:177] neg_lo:[0,1] neg_hi:[0,1]
	v_pk_add_f32 v[176:177], v[194:195], v[178:179] neg_lo:[0,1] neg_hi:[0,1]
	v_mov_b32_e32 v12, v114
	v_mov_b32_e32 v14, v8
	ds_write2_b64 v4, v[202:203], v[184:185] offset0:12 offset1:15
	v_pk_add_f32 v[184:185], v[248:249], v[242:243] neg_lo:[0,1] neg_hi:[0,1]
	v_pk_add_f32 v[190:191], v[190:191], v[204:205] neg_lo:[0,1] neg_hi:[0,1]
	ds_write2_b64 v4, v[26:27], v[176:177] offset0:24 offset1:27
	v_pk_add_f32 v[26:27], v[12:13], v[14:15] neg_lo:[0,1] neg_hi:[0,1]
	ds_write2_b64 v4, v[184:185], v[190:191] offset0:18 offset1:21
	v_mov_b32_e32 v4, v27
	v_mov_b32_e32 v9, v11
	v_pk_add_f32 v[176:177], v[126:127], v[114:115]
	v_pk_add_f32 v[10:11], v[246:247], v[252:253] neg_lo:[0,1] neg_hi:[0,1]
	v_pk_add_f32 v[26:27], v[26:27], v[4:5]
	v_pk_add_f32 v[176:177], v[176:177], v[8:9]
	v_pk_add_f32 v[178:179], v[8:9], v[254:255]
	v_pk_add_f32 v[8:9], v[8:9], v[254:255] neg_lo:[0,1] neg_hi:[0,1]
	v_mov_b32_e32 v4, v11
	v_pk_add_f32 v[10:11], v[10:11], v[4:5]
	v_pk_add_f32 v[184:185], v[192:193], v[50:51] neg_lo:[0,1] neg_hi:[0,1]
	v_fma_f32 v7, -0.5, v178, v126
	v_fma_f32 v19, -0.5, v179, v61
	v_mov_b32_e32 v27, v9
	v_pk_add_f32 v[178:179], v[114:115], v[244:245] neg_lo:[0,1] neg_hi:[0,1]
	v_pk_add_f32 v[124:125], v[124:125], v[184:185]
	v_pk_add_f32 v[184:185], v[112:113], v[50:51]
	v_pk_add_f32 v[190:191], v[62:63], v[192:193] neg_lo:[0,1] neg_hi:[0,1]
	v_pk_mul_f32 v[26:27], v[26:27], s[12:13]
	v_fmamk_f32 v4, v179, 0xbf737871, v7
	v_mov_b32_e32 v11, v8
	v_pk_fma_f32 v[184:185], v[184:185], 0.5, v[28:29] op_sel_hi:[1,0,1] neg_lo:[1,0,0] neg_hi:[1,0,0]
	v_pk_mul_f32 v[194:195], v[190:191], s[6:7] op_sel_hi:[1,0]
	v_sub_f32_e32 v20, v4, v27
	v_pk_mul_f32 v[10:11], v[10:11], s[12:13]
	v_fmamk_f32 v4, v178, 0x3f737871, v19
	v_pk_add_f32 v[200:201], v[184:185], v[194:195] op_sel:[0,1] op_sel_hi:[1,0] neg_lo:[0,1] neg_hi:[0,1]
	v_pk_add_f32 v[184:185], v[184:185], v[194:195] op_sel:[0,1] op_sel_hi:[1,0]
	v_pk_add_f32 v[194:195], v[112:113], v[50:51] neg_lo:[0,1] neg_hi:[0,1]
	v_add_f32_e32 v4, v11, v4
	v_pk_mul_f32 v[202:203], v[194:195], s[8:9] op_sel_hi:[1,0]
	v_add_f32_e32 v4, v10, v4
	v_pk_add_f32 v[184:185], v[184:185], v[202:203] op_sel:[0,1] op_sel_hi:[1,0]
	v_pk_add_f32 v[200:201], v[200:201], v[202:203] op_sel:[0,1] op_sel_hi:[1,0] neg_lo:[0,1] neg_hi:[0,1]
	v_pk_mul_f32 v[202:203], v[4:5], s[8:9] op_sel_hi:[0,1]
	v_add_f32_e32 v4, v26, v20
	v_pk_add_f32 v[12:13], v[14:15], v[12:13] neg_lo:[0,1] neg_hi:[0,1]
	v_pk_fma_f32 v[204:205], v[4:5], s[14:15], v[202:203] neg_lo:[0,0,1] neg_hi:[0,0,1]
	v_pk_fma_f32 v[202:203], v[4:5], s[14:15], v[202:203] op_sel_hi:[0,1,1]
	v_mov_b32_e32 v4, v13
	v_pk_add_f32 v[14:15], v[252:253], v[246:247] neg_lo:[0,1] neg_hi:[0,1]
	v_pk_add_f32 v[12:13], v[12:13], v[4:5]
	v_mov_b32_e32 v4, v15
	v_pk_add_f32 v[114:115], v[114:115], v[244:245]
	v_mov_b32_e32 v20, v126
	;; [unrolled: 2-line block ×3, first 2 shown]
	v_pk_add_f32 v[202:203], v[28:29], v[62:63]
	v_fmac_f32_e32 v20, -0.5, v114
	v_fmac_f32_e32 v61, -0.5, v115
	v_mov_b32_e32 v13, v179
	v_mov_b32_e32 v15, v178
	v_pk_add_f32 v[202:203], v[202:203], v[112:113]
	v_fmamk_f32 v4, v9, 0x3f737871, v20
	v_fmamk_f32 v35, v8, 0xbf737871, v61
	v_pk_mul_f32 v[12:13], v[12:13], s[12:13]
	v_pk_mul_f32 v[14:15], v[14:15], s[12:13]
	v_pk_add_f32 v[176:177], v[176:177], v[254:255]
	v_pk_add_f32 v[202:203], v[202:203], v[50:51]
	v_mov_b32_e32 v206, v200
	v_mov_b32_e32 v207, v185
	v_sub_f32_e32 v39, v4, v13
	v_add_f32_e32 v4, v15, v35
	v_pk_add_f32 v[202:203], v[202:203], v[192:193]
	v_pk_add_f32 v[176:177], v[176:177], v[244:245]
	v_pk_fma_f32 v[206:207], v[124:125], s[12:13], v[206:207] op_sel_hi:[1,0,1]
	v_fmac_f32_e32 v20, 0xbf737871, v9
	v_fmac_f32_e32 v61, 0x3f737871, v8
	v_pk_add_f32 v[8:9], v[112:113], v[62:63] neg_lo:[0,1] neg_hi:[0,1]
	v_pk_add_f32 v[50:51], v[50:51], v[192:193] neg_lo:[0,1] neg_hi:[0,1]
	v_add_f32_e32 v4, v14, v4
	v_pk_add_f32 v[208:209], v[202:203], v[176:177]
	v_pk_add_f32 v[210:211], v[206:207], v[204:205]
	v_accvgpr_read_b32 v43, a93
	v_pk_add_f32 v[8:9], v[8:9], v[50:51]
	v_pk_mul_f32 v[50:51], v[4:5], s[6:7] op_sel_hi:[0,1]
	v_add_f32_e32 v4, v12, v39
	ds_write2_b64 v43, v[208:209], v[210:211] offset1:3
	v_pk_add_f32 v[208:209], v[62:63], v[192:193]
	v_pk_fma_f32 v[62:63], v[4:5], s[10:11], v[50:51] neg_lo:[0,0,1] neg_hi:[0,0,1]
	v_pk_fma_f32 v[50:51], v[4:5], s[10:11], v[50:51] op_sel_hi:[0,1,1]
	v_add_f32_e32 v4, v13, v20
	v_add_f32_e32 v4, v12, v4
	v_sub_f32_e32 v12, v61, v15
	v_pk_fma_f32 v[28:29], v[208:209], 0.5, v[28:29] op_sel_hi:[1,0,1] neg_lo:[1,0,0] neg_hi:[1,0,0]
	v_mov_b32_e32 v63, v51
	v_pk_mul_f32 v[50:51], v[194:195], s[6:7] op_sel_hi:[1,0]
	v_add_f32_e32 v12, v14, v12
	v_pk_add_f32 v[112:113], v[28:29], v[50:51] op_sel:[0,1] op_sel_hi:[1,0]
	v_pk_add_f32 v[28:29], v[28:29], v[50:51] op_sel:[0,1] op_sel_hi:[1,0] neg_lo:[0,1] neg_hi:[0,1]
	v_pk_mul_f32 v[50:51], v[190:191], s[8:9] op_sel_hi:[1,0]
	v_pk_mul_f32 v[12:13], v[12:13], s[6:7] op_sel_hi:[0,1]
	v_fmac_f32_e32 v7, 0x3f737871, v179
	v_fmac_f32_e32 v19, 0xbf737871, v178
	v_pk_add_f32 v[28:29], v[28:29], v[50:51] op_sel:[0,1] op_sel_hi:[1,0]
	v_pk_add_f32 v[50:51], v[112:113], v[50:51] op_sel:[0,1] op_sel_hi:[1,0] neg_lo:[0,1] neg_hi:[0,1]
	v_pk_fma_f32 v[12:13], v[4:5], s[16:17], v[12:13] op_sel_hi:[0,1,1] neg_lo:[0,0,1] neg_hi:[0,0,1]
	v_add_f32_e32 v4, v27, v7
	v_sub_f32_e32 v7, v19, v11
	v_mov_b32_e32 v14, v50
	v_mov_b32_e32 v15, v29
	;; [unrolled: 1-line block ×3, first 2 shown]
	v_add_f32_e32 v10, v10, v7
	v_pk_fma_f32 v[14:15], v[8:9], s[12:13], v[14:15] op_sel_hi:[1,0,1]
	v_pk_fma_f32 v[8:9], v[8:9], s[12:13], v[28:29] op_sel_hi:[1,0,1]
	v_add_f32_e32 v4, v26, v4
	v_pk_mul_f32 v[10:11], v[10:11], s[8:9] op_sel_hi:[0,1]
	v_mov_b32_e32 v185, v201
	v_pk_add_f32 v[28:29], v[14:15], v[62:63]
	v_pk_add_f32 v[50:51], v[8:9], v[12:13]
	v_accvgpr_read_b32 v20, a93
	v_pk_fma_f32 v[10:11], v[4:5], s[18:19], v[10:11] op_sel_hi:[0,1,1] neg_lo:[0,0,1] neg_hi:[0,0,1]
	v_pk_fma_f32 v[26:27], v[124:125], s[12:13], v[184:185] op_sel_hi:[1,0,1]
	ds_write2_b64 v20, v[28:29], v[50:51] offset0:6 offset1:9
	v_pk_add_f32 v[50:51], v[26:27], v[10:11]
	v_accvgpr_read_b32 v4, a93
	v_pk_add_f32 v[8:9], v[8:9], v[12:13] neg_lo:[0,1] neg_hi:[0,1]
	v_pk_add_f32 v[10:11], v[26:27], v[10:11] neg_lo:[0,1] neg_hi:[0,1]
	;; [unrolled: 1-line block ×3, first 2 shown]
	ds_write2_b64 v4, v[8:9], v[10:11] offset0:24 offset1:27
	v_mov_b32_e32 v8, v18
	v_mov_b32_e32 v9, v186
	;; [unrolled: 1-line block ×4, first 2 shown]
	ds_write2_b64 v4, v[50:51], v[28:29] offset0:12 offset1:15
	v_pk_add_f32 v[28:29], v[206:207], v[204:205] neg_lo:[0,1] neg_hi:[0,1]
	v_pk_add_f32 v[14:15], v[14:15], v[62:63] neg_lo:[0,1] neg_hi:[0,1]
	;; [unrolled: 1-line block ×3, first 2 shown]
	v_mov_b32_e32 v7, v21
	v_mov_b32_e32 v19, v189
	ds_write2_b64 v4, v[28:29], v[14:15] offset0:18 offset1:21
	v_mov_b32_e32 v4, v13
	v_pk_add_f32 v[14:15], v[6:7], v[18:19]
	v_pk_add_f32 v[12:13], v[12:13], v[4:5]
	;; [unrolled: 1-line block ×3, first 2 shown]
	v_mov_b32_e32 v4, v219
	v_pk_add_f32 v[26:27], v[48:49], v[46:47]
	v_pk_add_f32 v[28:29], v[48:49], v[46:47] neg_lo:[0,1] neg_hi:[0,1]
	v_pk_add_f32 v[14:15], v[14:15], v[46:47]
	v_pk_add_f32 v[46:47], v[180:181], v[4:5] neg_lo:[0,1] neg_hi:[0,1]
	v_fma_f32 v7, -0.5, v26, v6
	v_mov_b32_e32 v20, v47
	v_pk_add_f32 v[46:47], v[46:47], v[20:21]
	v_fma_f32 v20, -0.5, v27, v21
	v_pk_add_f32 v[26:27], v[18:19], v[186:187] neg_lo:[0,1] neg_hi:[0,1]
	v_mov_b32_e32 v47, v28
	v_mov_b32_e32 v13, v29
	v_pk_mul_f32 v[46:47], v[46:47], s[12:13]
	v_fmamk_f32 v39, v26, 0x3f737871, v20
	v_fmac_f32_e32 v20, 0xbf737871, v26
	v_pk_mul_f32 v[12:13], v[12:13], s[12:13]
	v_fmamk_f32 v35, v27, 0xbf737871, v7
	v_fmac_f32_e32 v7, 0x3f737871, v27
	v_sub_f32_e32 v20, v20, v47
	v_add_f32_e32 v7, v13, v7
	v_add_f32_e32 v20, v46, v20
	v_pk_mul_f32 v[48:49], v[20:21], s[8:9] op_sel_hi:[0,1]
	v_add_f32_e32 v20, v12, v7
	v_pk_add_f32 v[50:51], v[0:1], v[16:17]
	v_sub_f32_e32 v7, v35, v13
	v_pk_add_f32 v[50:51], v[50:51], v[24:25]
	v_add_f32_e32 v12, v12, v7
	v_add_f32_e32 v7, v47, v39
	v_pk_fma_f32 v[48:49], v[20:21], s[18:19], v[48:49] op_sel_hi:[0,1,1] neg_lo:[0,0,1] neg_hi:[0,0,1]
	v_pk_add_f32 v[50:51], v[50:51], v[44:45]
	v_add_f32_e32 v20, v46, v7
	v_pk_add_f32 v[14:15], v[14:15], v[186:187]
	v_pk_add_f32 v[50:51], v[50:51], v[182:183]
	v_pk_mul_f32 v[46:47], v[20:21], s[8:9] op_sel_hi:[0,1]
	v_pk_add_f32 v[60:61], v[50:51], v[14:15] neg_lo:[0,1] neg_hi:[0,1]
	v_pk_add_f32 v[14:15], v[50:51], v[14:15]
	v_pk_fma_f32 v[50:51], v[12:13], s[14:15], v[46:47] neg_lo:[0,0,1] neg_hi:[0,0,1]
	v_pk_fma_f32 v[12:13], v[12:13], s[14:15], v[46:47] op_sel_hi:[0,1,1]
	v_mov_b32_e32 v43, v199
	v_mov_b32_e32 v51, v13
	v_pk_fma_f32 v[2:3], v[2:3], s[12:13], v[42:43] op_sel_hi:[1,0,1]
	v_pk_add_f32 v[8:9], v[10:11], v[8:9] neg_lo:[0,1] neg_hi:[0,1]
	v_pk_add_f32 v[12:13], v[2:3], v[50:51]
	v_mov_b32_e32 v10, v9
	v_pk_add_f32 v[4:5], v[4:5], v[180:181] neg_lo:[0,1] neg_hi:[0,1]
	ds_write2_b64 v79, v[14:15], v[12:13] offset1:3
	v_pk_add_f32 v[12:13], v[16:17], v[182:183]
	v_pk_add_f32 v[8:9], v[8:9], v[10:11]
	v_mov_b32_e32 v10, v6
	v_mov_b32_e32 v6, v5
	v_pk_fma_f32 v[0:1], v[12:13], 0.5, v[0:1] op_sel_hi:[1,0,1] neg_lo:[1,0,0] neg_hi:[1,0,0]
	v_pk_add_f32 v[12:13], v[18:19], v[186:187]
	v_pk_add_f32 v[4:5], v[4:5], v[6:7]
	v_fmac_f32_e32 v21, -0.5, v13
	v_mov_b32_e32 v5, v26
	v_fmac_f32_e32 v10, -0.5, v12
	v_mov_b32_e32 v9, v27
	v_fmamk_f32 v15, v28, 0xbf737871, v21
	v_fmac_f32_e32 v21, 0x3f737871, v28
	v_pk_mul_f32 v[4:5], v[4:5], s[12:13]
	v_fmamk_f32 v14, v29, 0x3f737871, v10
	v_fmac_f32_e32 v10, 0xbf737871, v29
	v_sub_f32_e32 v11, v21, v5
	v_pk_mul_f32 v[6:7], v[8:9], s[12:13]
	v_add_f32_e32 v8, v4, v11
	v_add_f32_e32 v10, v7, v10
	v_pk_mul_f32 v[8:9], v[8:9], s[6:7] op_sel_hi:[0,1]
	v_add_f32_e32 v10, v6, v10
	v_add_f32_e32 v5, v5, v15
	v_pk_fma_f32 v[8:9], v[10:11], s[16:17], v[8:9] op_sel_hi:[0,1,1] neg_lo:[0,0,1] neg_hi:[0,0,1]
	v_pk_add_f32 v[10:11], v[24:25], v[16:17] neg_lo:[0,1] neg_hi:[0,1]
	v_pk_add_f32 v[12:13], v[44:45], v[182:183] neg_lo:[0,1] neg_hi:[0,1]
	v_sub_f32_e32 v7, v14, v7
	v_add_f32_e32 v4, v4, v5
	v_pk_add_f32 v[10:11], v[10:11], v[12:13]
	v_pk_fma_f32 v[12:13], v[40:41], s[6:7], v[0:1] op_sel:[1,0,0] op_sel_hi:[0,0,1] neg_lo:[1,0,0] neg_hi:[1,0,0]
	v_pk_fma_f32 v[0:1], v[40:41], s[6:7], v[0:1] op_sel:[1,0,0] op_sel_hi:[0,0,1]
	v_add_f32_e32 v6, v6, v7
	v_pk_mul_f32 v[4:5], v[4:5], s[6:7] op_sel_hi:[0,1]
	v_pk_fma_f32 v[0:1], v[30:31], s[8:9], v[0:1] op_sel:[1,0,0] op_sel_hi:[0,0,1] neg_lo:[1,0,0] neg_hi:[1,0,0]
	v_pk_fma_f32 v[12:13], v[30:31], s[8:9], v[12:13] op_sel:[1,0,0] op_sel_hi:[0,0,1]
	v_pk_fma_f32 v[14:15], v[6:7], s[10:11], v[4:5] neg_lo:[0,0,1] neg_hi:[0,0,1]
	v_pk_fma_f32 v[4:5], v[6:7], s[10:11], v[4:5] op_sel_hi:[0,1,1]
	v_mov_b32_e32 v15, v5
	v_mov_b32_e32 v5, v1
	;; [unrolled: 1-line block ×4, first 2 shown]
	v_pk_fma_f32 v[0:1], v[10:11], s[12:13], v[0:1] op_sel_hi:[1,0,1]
	v_pk_fma_f32 v[4:5], v[10:11], s[12:13], v[4:5] op_sel_hi:[1,0,1]
	v_pk_add_f32 v[10:11], v[0:1], v[14:15]
	v_accvgpr_read_b32 v12, a87
	v_pk_add_f32 v[2:3], v[2:3], v[50:51] neg_lo:[0,1] neg_hi:[0,1]
	v_pk_add_f32 v[0:1], v[0:1], v[14:15] neg_lo:[0,1] neg_hi:[0,1]
	v_pk_add_f32 v[62:63], v[22:23], v[48:49]
	v_pk_add_f32 v[6:7], v[4:5], v[8:9]
	ds_write2_b64 v12, v[2:3], v[0:1] offset0:18 offset1:21
	v_pk_add_f32 v[0:1], v[22:23], v[48:49] neg_lo:[0,1] neg_hi:[0,1]
	v_pk_add_f32 v[2:3], v[4:5], v[8:9] neg_lo:[0,1] neg_hi:[0,1]
	ds_write2_b64 v79, v[62:63], v[60:61] offset0:12 offset1:15
	ds_write2_b64 v12, v[10:11], v[6:7] offset0:6 offset1:9
	;; [unrolled: 1-line block ×3, first 2 shown]
	s_waitcnt lgkmcnt(0)
	s_barrier
	ds_read2_b64 v[0:3], v143 offset0:88 offset1:178
	v_accvgpr_read_b32 v8, a192
	v_accvgpr_read_b32 v9, a193
	v_accvgpr_read_b32 v10, a166
	v_accvgpr_read_b32 v11, a167
	s_waitcnt lgkmcnt(0)
	v_pk_mul_f32 v[4:5], v[8:9], v[2:3] op_sel:[1,0]
	v_accvgpr_read_b32 v12, a74
	v_pk_fma_f32 v[6:7], v[8:9], v[2:3], v[4:5] op_sel:[0,0,1] op_sel_hi:[1,1,0]
	v_pk_fma_f32 v[4:5], v[8:9], v[2:3], v[4:5] op_sel:[0,0,1] op_sel_hi:[0,1,0] neg_lo:[0,0,1] neg_hi:[0,0,1]
	v_accvgpr_read_b32 v8, a168
	v_accvgpr_read_b32 v9, a169
	v_pk_mul_f32 v[2:3], v[8:9], v[0:1] op_sel:[1,0]
	v_mov_b32_e32 v4, v107
	v_pk_fma_f32 v[30:31], v[8:9], v[0:1], v[2:3] op_sel:[0,0,1] op_sel_hi:[1,1,0]
	v_pk_fma_f32 v[26:27], v[8:9], v[0:1], v[2:3] op_sel:[0,0,1] op_sel_hi:[0,1,0] neg_lo:[0,0,1] neg_hi:[0,0,1]
	ds_read2_b64 v[0:3], v135 offset0:36 offset1:126
	v_accvgpr_read_b32 v14, a76
	v_accvgpr_read_b32 v13, a75
	;; [unrolled: 1-line block ×4, first 2 shown]
	s_waitcnt lgkmcnt(0)
	v_pk_mul_f32 v[8:9], v[10:11], v[2:3] op_sel:[1,0]
	v_accvgpr_read_b32 v192, a90
	v_pk_fma_f32 v[124:125], v[10:11], v[2:3], v[8:9] op_sel:[0,0,1] op_sel_hi:[1,1,0]
	v_pk_fma_f32 v[126:127], v[10:11], v[2:3], v[8:9] op_sel:[0,0,1] op_sel_hi:[0,1,0] neg_lo:[0,0,1] neg_hi:[0,0,1]
	v_mov_b32_e32 v2, v103
	v_pk_mul_f32 v[2:3], v[2:3], v[0:1] op_sel_hi:[0,1]
	v_pk_fma_f32 v[16:17], v[102:103], v[0:1], v[2:3] op_sel:[0,0,1] op_sel_hi:[1,1,0]
	v_pk_fma_f32 v[42:43], v[102:103], v[0:1], v[2:3] op_sel:[0,0,1] op_sel_hi:[0,1,0] neg_lo:[0,0,1] neg_hi:[0,0,1]
	ds_read2_b64 v[0:3], v155 offset0:60 offset1:150
	v_mov_b32_e32 v125, v127
	v_mov_b32_e32 v31, v27
	s_waitcnt lgkmcnt(0)
	v_pk_mul_f32 v[8:9], v[100:101], v[2:3] op_sel:[1,0]
	s_nop 0
	v_pk_fma_f32 v[40:41], v[100:101], v[2:3], v[8:9] op_sel:[0,0,1] op_sel_hi:[1,1,0]
	v_pk_fma_f32 v[20:21], v[100:101], v[2:3], v[8:9] op_sel:[0,0,1] op_sel_hi:[0,1,0] neg_lo:[0,0,1] neg_hi:[0,0,1]
	v_pk_mul_f32 v[2:3], v[104:105], v[0:1] op_sel:[1,0]
	v_mov_b32_e32 v41, v21
	v_pk_fma_f32 v[100:101], v[104:105], v[0:1], v[2:3] op_sel:[0,0,1] op_sel_hi:[1,1,0]
	v_pk_fma_f32 v[60:61], v[104:105], v[0:1], v[2:3] op_sel:[0,0,1] op_sel_hi:[0,1,0] neg_lo:[0,0,1] neg_hi:[0,0,1]
	ds_read2_b64 v[0:3], v151 offset0:112 offset1:202
	v_mov_b32_e32 v101, v61
	s_waitcnt lgkmcnt(0)
	v_pk_mul_f32 v[8:9], v[4:5], v[2:3] op_sel_hi:[0,1]
	v_pk_fma_f32 v[50:51], v[106:107], v[2:3], v[8:9] op_sel:[0,0,1] op_sel_hi:[1,1,0]
	v_pk_fma_f32 v[102:103], v[106:107], v[2:3], v[8:9] op_sel:[0,0,1] op_sel_hi:[0,1,0] neg_lo:[0,0,1] neg_hi:[0,0,1]
	v_accvgpr_read_b32 v2, a158
	v_pk_mul_f32 v[2:3], v[2:3], v[0:1] op_sel_hi:[0,1]
	v_pk_fma_f32 v[176:177], v[130:131], v[0:1], v[2:3] op_sel:[0,0,1] op_sel_hi:[1,1,0]
	v_pk_fma_f32 v[114:115], v[130:131], v[0:1], v[2:3] op_sel:[0,0,1] op_sel_hi:[0,1,0] neg_lo:[0,0,1] neg_hi:[0,0,1]
	ds_read2_b64 v[0:3], v163 offset0:8 offset1:98
	v_accvgpr_read_b32 v4, a134
	v_mov_b32_e32 v177, v115
	v_mov_b32_e32 v51, v103
	s_waitcnt lgkmcnt(0)
	v_pk_mul_f32 v[8:9], v[128:129], v[2:3] op_sel:[1,0]
	s_nop 0
	v_pk_fma_f32 v[178:179], v[128:129], v[2:3], v[8:9] op_sel:[0,0,1] op_sel_hi:[1,1,0]
	v_pk_fma_f32 v[128:129], v[128:129], v[2:3], v[8:9] op_sel:[0,0,1] op_sel_hi:[0,1,0] neg_lo:[0,0,1] neg_hi:[0,0,1]
	v_accvgpr_read_b32 v2, a144
	v_pk_mul_f32 v[2:3], v[2:3], v[0:1] op_sel_hi:[0,1]
	v_pk_fma_f32 v[18:19], v[94:95], v[0:1], v[2:3] op_sel:[0,0,1] op_sel_hi:[1,1,0]
	v_pk_fma_f32 v[48:49], v[94:95], v[0:1], v[2:3] op_sel:[0,0,1] op_sel_hi:[0,1,0] neg_lo:[0,0,1] neg_hi:[0,0,1]
	ds_read2_b64 v[0:3], v123 offset0:160 offset1:250
	v_mov_b32_e32 v179, v129
	v_mov_b32_e32 v19, v49
	s_waitcnt lgkmcnt(0)
	v_pk_mul_f32 v[8:9], v[92:93], v[2:3] op_sel:[1,0]
	s_nop 0
	v_pk_fma_f32 v[46:47], v[92:93], v[2:3], v[8:9] op_sel:[0,0,1] op_sel_hi:[1,1,0]
	v_pk_fma_f32 v[44:45], v[92:93], v[2:3], v[8:9] op_sel:[0,0,1] op_sel_hi:[0,1,0] neg_lo:[0,0,1] neg_hi:[0,0,1]
	v_pk_mul_f32 v[2:3], v[76:77], v[0:1] op_sel:[1,0]
	v_mov_b32_e32 v20, v45
	v_pk_fma_f32 v[94:95], v[76:77], v[0:1], v[2:3] op_sel:[0,0,1] op_sel_hi:[1,1,0]
	v_pk_fma_f32 v[92:93], v[76:77], v[0:1], v[2:3] op_sel:[0,0,1] op_sel_hi:[0,1,0] neg_lo:[0,0,1] neg_hi:[0,0,1]
	ds_read2_b64 v[0:3], v147 offset0:84 offset1:174
	v_mov_b32_e32 v60, v93
	v_mov_b32_e32 v95, v93
	;; [unrolled: 1-line block ×3, first 2 shown]
	s_waitcnt lgkmcnt(0)
	v_pk_mul_f32 v[8:9], v[4:5], v[2:3] op_sel_hi:[0,1]
	v_pk_fma_f32 v[62:63], v[78:79], v[2:3], v[8:9] op_sel:[0,0,1] op_sel_hi:[1,1,0]
	v_pk_fma_f32 v[106:107], v[78:79], v[2:3], v[8:9] op_sel:[0,0,1] op_sel_hi:[0,1,0] neg_lo:[0,0,1] neg_hi:[0,0,1]
	v_accvgpr_read_b32 v2, a138
	v_pk_mul_f32 v[2:3], v[2:3], v[0:1] op_sel_hi:[0,1]
	v_pk_fma_f32 v[180:181], v[118:119], v[0:1], v[2:3] op_sel:[0,0,1] op_sel_hi:[1,1,0]
	v_pk_fma_f32 v[182:183], v[118:119], v[0:1], v[2:3] op_sel:[0,0,1] op_sel_hi:[0,1,0] neg_lo:[0,0,1] neg_hi:[0,0,1]
	ds_read2_b64 v[0:3], v55 offset0:108 offset1:198
	v_accvgpr_read_b32 v4, a116
	v_mov_b32_e32 v181, v183
	v_mov_b32_e32 v183, v178
	;; [unrolled: 1-line block ×3, first 2 shown]
	s_waitcnt lgkmcnt(0)
	v_pk_mul_f32 v[8:9], v[116:117], v[2:3] op_sel:[1,0]
	v_pk_add_f32 v[106:107], v[94:95], v[100:101]
	v_pk_fma_f32 v[184:185], v[116:117], v[2:3], v[8:9] op_sel:[0,0,1] op_sel_hi:[1,1,0]
	v_pk_fma_f32 v[116:117], v[116:117], v[2:3], v[8:9] op_sel:[0,0,1] op_sel_hi:[0,1,0] neg_lo:[0,0,1] neg_hi:[0,0,1]
	v_accvgpr_read_b32 v2, a126
	v_pk_mul_f32 v[2:3], v[2:3], v[0:1] op_sel_hi:[0,1]
	v_pk_fma_f32 v[22:23], v[34:35], v[0:1], v[2:3] op_sel:[0,0,1] op_sel_hi:[1,1,0]
	v_pk_fma_f32 v[34:35], v[34:35], v[0:1], v[2:3] op_sel:[0,0,1] op_sel_hi:[0,1,0] neg_lo:[0,0,1] neg_hi:[0,0,1]
	ds_read2_b64 v[0:3], v175 offset0:132 offset1:222
	v_mov_b32_e32 v182, v184
	v_mov_b32_e32 v185, v117
	;; [unrolled: 1-line block ×3, first 2 shown]
	v_pk_add_f32 v[116:117], v[176:177], v[180:181] neg_lo:[0,1] neg_hi:[0,1]
	s_waitcnt lgkmcnt(0)
	v_pk_mul_f32 v[8:9], v[32:33], v[2:3] op_sel:[1,0]
	v_mov_b32_e32 v23, v35
	v_pk_fma_f32 v[28:29], v[32:33], v[2:3], v[8:9] op_sel:[0,0,1] op_sel_hi:[1,1,0]
	v_pk_fma_f32 v[32:33], v[32:33], v[2:3], v[8:9] op_sel:[0,0,1] op_sel_hi:[0,1,0] neg_lo:[0,0,1] neg_hi:[0,0,1]
	v_pk_mul_f32 v[2:3], v[36:37], v[0:1] op_sel:[1,0]
	v_mov_b32_e32 v29, v33
	v_pk_fma_f32 v[78:79], v[36:37], v[0:1], v[2:3] op_sel:[0,0,1] op_sel_hi:[1,1,0]
	v_pk_fma_f32 v[104:105], v[36:37], v[0:1], v[2:3] op_sel:[0,0,1] op_sel_hi:[0,1,0] neg_lo:[0,0,1] neg_hi:[0,0,1]
	ds_read2_b64 v[0:3], v159 offset0:56 offset1:146
	v_mov_b32_e32 v79, v105
	v_mov_b32_e32 v26, v105
	v_pk_add_f32 v[92:93], v[26:27], v[60:61] neg_lo:[0,1] neg_hi:[0,1]
	v_pk_add_f32 v[104:105], v[50:51], v[62:63] neg_lo:[0,1] neg_hi:[0,1]
	s_waitcnt lgkmcnt(0)
	v_pk_mul_f32 v[8:9], v[4:5], v[2:3] op_sel_hi:[0,1]
	v_pk_fma_f32 v[76:77], v[38:39], v[2:3], v[8:9] op_sel:[0,0,1] op_sel_hi:[1,1,0]
	v_pk_fma_f32 v[112:113], v[38:39], v[2:3], v[8:9] op_sel:[0,0,1] op_sel_hi:[0,1,0] neg_lo:[0,0,1] neg_hi:[0,0,1]
	v_accvgpr_read_b32 v2, a118
	v_pk_mul_f32 v[2:3], v[2:3], v[0:1] op_sel_hi:[0,1]
	v_pk_fma_f32 v[186:187], v[90:91], v[0:1], v[2:3] op_sel:[0,0,1] op_sel_hi:[1,1,0]
	v_pk_fma_f32 v[188:189], v[90:91], v[0:1], v[2:3] op_sel:[0,0,1] op_sel_hi:[0,1,0] neg_lo:[0,0,1] neg_hi:[0,0,1]
	ds_read2_b64 v[0:3], v111 offset0:80 offset1:170
	v_accvgpr_read_b32 v4, a102
	v_mov_b32_e32 v187, v189
	v_pk_add_f32 v[204:205], v[186:187], v[180:181]
	v_mov_b32_e32 v77, v113
	s_waitcnt lgkmcnt(0)
	v_pk_mul_f32 v[8:9], v[88:89], v[2:3] op_sel:[1,0]
	v_pk_add_f32 v[34:35], v[46:47], v[40:41]
	v_pk_fma_f32 v[190:191], v[88:89], v[2:3], v[8:9] op_sel:[0,0,1] op_sel_hi:[1,1,0]
	v_pk_fma_f32 v[88:89], v[88:89], v[2:3], v[8:9] op_sel:[0,0,1] op_sel_hi:[0,1,0] neg_lo:[0,0,1] neg_hi:[0,0,1]
	v_accvgpr_read_b32 v2, a110
	v_pk_mul_f32 v[2:3], v[2:3], v[0:1] op_sel_hi:[0,1]
	v_pk_fma_f32 v[24:25], v[14:15], v[0:1], v[2:3] op_sel:[0,0,1] op_sel_hi:[1,1,0]
	v_pk_fma_f32 v[36:37], v[14:15], v[0:1], v[2:3] op_sel:[0,0,1] op_sel_hi:[0,1,0] neg_lo:[0,0,1] neg_hi:[0,0,1]
	ds_read2_b64 v[0:3], v87 offset0:104 offset1:194
	v_mov_b32_e32 v191, v89
	v_mov_b32_e32 v126, v89
	v_pk_add_f32 v[88:89], v[126:127], v[128:129] neg_lo:[0,1] neg_hi:[0,1]
	v_mov_b32_e32 v25, v37
	s_waitcnt lgkmcnt(0)
	v_pk_mul_f32 v[8:9], v[12:13], v[2:3] op_sel:[1,0]
	v_pk_add_f32 v[36:37], v[46:47], v[40:41] neg_lo:[0,1] neg_hi:[0,1]
	v_pk_fma_f32 v[10:11], v[12:13], v[2:3], v[8:9] op_sel:[0,0,1] op_sel_hi:[0,1,0]
	v_pk_fma_f32 v[8:9], v[12:13], v[2:3], v[8:9] op_sel:[0,0,1] op_sel_hi:[0,1,0] neg_lo:[0,0,1] neg_hi:[0,0,1]
	v_pk_mul_f32 v[2:3], v[192:193], v[0:1] op_sel:[1,0]
	s_nop 0
	v_pk_fma_f32 v[14:15], v[192:193], v[0:1], v[2:3] op_sel:[0,0,1] op_sel_hi:[0,1,0]
	v_pk_fma_f32 v[12:13], v[192:193], v[0:1], v[2:3] op_sel:[0,0,1] op_sel_hi:[0,1,0] neg_lo:[0,0,1] neg_hi:[0,0,1]
	ds_read2_b64 v[0:3], v139 offset0:28 offset1:118
	v_mov_b32_e32 v15, v13
	v_pk_add_f32 v[102:103], v[14:15], v[78:79]
	s_waitcnt lgkmcnt(0)
	v_pk_mul_f32 v[192:193], v[4:5], v[2:3] op_sel_hi:[0,1]
	v_pk_fma_f32 v[38:39], v[194:195], v[2:3], v[192:193] op_sel:[0,0,1] op_sel_hi:[1,1,0]
	v_pk_fma_f32 v[192:193], v[194:195], v[2:3], v[192:193] op_sel:[0,0,1] op_sel_hi:[0,1,0] neg_lo:[0,0,1] neg_hi:[0,0,1]
	v_accvgpr_read_b32 v2, a104
	v_pk_mul_f32 v[2:3], v[2:3], v[0:1] op_sel_hi:[0,1]
	v_pk_fma_f32 v[194:195], v[74:75], v[0:1], v[2:3] op_sel:[0,0,1] op_sel_hi:[1,1,0]
	v_pk_fma_f32 v[198:199], v[74:75], v[0:1], v[2:3] op_sel:[0,0,1] op_sel_hi:[0,1,0] neg_lo:[0,0,1] neg_hi:[0,0,1]
	ds_read2_b64 v[0:3], v167 offset0:52 offset1:142
	v_mov_b32_e32 v195, v199
	v_pk_add_f32 v[198:199], v[184:185], v[178:179]
	v_pk_add_f32 v[206:207], v[194:195], v[176:177] neg_lo:[0,1] neg_hi:[0,1]
	v_mov_b32_e32 v39, v193
	s_waitcnt lgkmcnt(0)
	v_pk_mul_f32 v[200:201], v[72:73], v[2:3] op_sel:[1,0]
	v_pk_mul_f32 v[208:209], v[206:207], s[6:7] op_sel_hi:[1,0]
	v_pk_fma_f32 v[202:203], v[72:73], v[2:3], v[200:201] op_sel:[0,0,1] op_sel_hi:[0,1,0]
	v_pk_fma_f32 v[2:3], v[72:73], v[2:3], v[200:201] op_sel:[0,0,1] op_sel_hi:[0,1,0] neg_lo:[0,0,1] neg_hi:[0,0,1]
	v_mov_b32_e32 v72, v190
	v_mov_b32_e32 v73, v124
	v_pk_add_f32 v[114:115], v[72:73], v[182:183] neg_lo:[0,1] neg_hi:[0,1]
	v_mov_b32_e32 v203, v3
	v_mov_b32_e32 v2, v115
	v_pk_add_f32 v[188:189], v[114:115], v[2:3]
	v_pk_add_f32 v[114:115], v[202:203], v[190:191]
	v_mov_b32_e32 v2, v89
	v_pk_add_f32 v[114:115], v[114:115], v[184:185]
	v_pk_add_f32 v[184:185], v[184:185], v[178:179] neg_lo:[0,1] neg_hi:[0,1]
	v_pk_add_f32 v[178:179], v[114:115], v[178:179]
	v_pk_add_f32 v[114:115], v[194:195], v[186:187] neg_lo:[0,1] neg_hi:[0,1]
	v_pk_add_f32 v[88:89], v[88:89], v[2:3]
	v_pk_add_f32 v[200:201], v[114:115], v[116:117]
	ds_read2_b64 v[114:117], v196 offset1:90
	v_fma_f32 v7, -0.5, v198, v202
	v_fma_f32 v8, -0.5, v199, v3
	v_mov_b32_e32 v189, v185
	v_pk_add_f32 v[198:199], v[190:191], v[124:125] neg_lo:[0,1] neg_hi:[0,1]
	v_pk_mul_f32 v[188:189], v[188:189], s[12:13]
	v_fmamk_f32 v2, v199, 0xbf737871, v7
	v_mov_b32_e32 v89, v184
	s_waitcnt lgkmcnt(0)
	v_pk_fma_f32 v[204:205], v[204:205], 0.5, v[114:115] op_sel_hi:[1,0,1] neg_lo:[1,0,0] neg_hi:[1,0,0]
	v_sub_f32_e32 v4, v2, v189
	v_pk_mul_f32 v[88:89], v[88:89], s[12:13]
	v_fmamk_f32 v2, v198, 0x3f737871, v8
	v_pk_add_f32 v[210:211], v[204:205], v[208:209] op_sel:[0,1] op_sel_hi:[1,0] neg_lo:[0,1] neg_hi:[0,1]
	v_pk_add_f32 v[204:205], v[204:205], v[208:209] op_sel:[0,1] op_sel_hi:[1,0]
	v_pk_add_f32 v[208:209], v[186:187], v[180:181] neg_lo:[0,1] neg_hi:[0,1]
	v_add_f32_e32 v2, v89, v2
	v_pk_mul_f32 v[212:213], v[208:209], s[8:9] op_sel_hi:[1,0]
	v_add_f32_e32 v2, v88, v2
	v_pk_add_f32 v[204:205], v[204:205], v[212:213] op_sel:[0,1] op_sel_hi:[1,0]
	v_pk_add_f32 v[210:211], v[210:211], v[212:213] op_sel:[0,1] op_sel_hi:[1,0] neg_lo:[0,1] neg_hi:[0,1]
	v_pk_mul_f32 v[212:213], v[2:3], s[8:9] op_sel_hi:[0,1]
	v_add_f32_e32 v2, v188, v4
	v_pk_add_f32 v[72:73], v[182:183], v[72:73] neg_lo:[0,1] neg_hi:[0,1]
	v_pk_fma_f32 v[214:215], v[2:3], s[14:15], v[212:213] neg_lo:[0,0,1] neg_hi:[0,0,1]
	v_pk_fma_f32 v[212:213], v[2:3], s[14:15], v[212:213] op_sel_hi:[0,1,1]
	v_pk_add_f32 v[178:179], v[178:179], v[124:125]
	v_pk_add_f32 v[124:125], v[190:191], v[124:125]
	v_mov_b32_e32 v2, v73
	v_mov_b32_e32 v4, v202
	v_pk_add_f32 v[72:73], v[72:73], v[2:3]
	v_fmac_f32_e32 v4, -0.5, v124
	v_fmac_f32_e32 v3, -0.5, v125
	v_pk_add_f32 v[124:125], v[128:129], v[126:127] neg_lo:[0,1] neg_hi:[0,1]
	v_mov_b32_e32 v215, v213
	v_mov_b32_e32 v2, v125
	v_pk_add_f32 v[124:125], v[124:125], v[2:3]
	v_pk_add_f32 v[212:213], v[114:115], v[194:195]
	v_mov_b32_e32 v73, v199
	v_mov_b32_e32 v125, v198
	v_pk_add_f32 v[212:213], v[212:213], v[186:187]
	v_fmamk_f32 v2, v185, 0x3f737871, v4
	v_fmamk_f32 v11, v184, 0xbf737871, v3
	v_pk_mul_f32 v[72:73], v[72:73], s[12:13]
	v_pk_mul_f32 v[124:125], v[124:125], s[12:13]
	v_pk_add_f32 v[212:213], v[212:213], v[180:181]
	v_sub_f32_e32 v12, v2, v73
	v_add_f32_e32 v2, v125, v11
	v_pk_add_f32 v[212:213], v[212:213], v[176:177]
	v_fmac_f32_e32 v3, 0x3f737871, v184
	v_pk_add_f32 v[126:127], v[186:187], v[194:195] neg_lo:[0,1] neg_hi:[0,1]
	v_pk_add_f32 v[128:129], v[194:195], v[176:177]
	v_pk_add_f32 v[176:177], v[180:181], v[176:177] neg_lo:[0,1] neg_hi:[0,1]
	v_add_f32_e32 v2, v124, v2
	v_pk_add_f32 v[126:127], v[126:127], v[176:177]
	v_pk_mul_f32 v[176:177], v[2:3], s[6:7] op_sel_hi:[0,1]
	v_add_f32_e32 v2, v72, v12
	v_fmac_f32_e32 v4, 0xbf737871, v185
	v_pk_fma_f32 v[180:181], v[2:3], s[10:11], v[176:177] neg_lo:[0,0,1] neg_hi:[0,0,1]
	v_pk_fma_f32 v[176:177], v[2:3], s[10:11], v[176:177] op_sel_hi:[0,1,1]
	v_pk_fma_f32 v[114:115], v[128:129], 0.5, v[114:115] op_sel_hi:[1,0,1] neg_lo:[1,0,0] neg_hi:[1,0,0]
	v_pk_mul_f32 v[128:129], v[208:209], s[6:7] op_sel_hi:[1,0]
	v_sub_f32_e32 v3, v3, v125
	v_mov_b32_e32 v181, v177
	v_pk_add_f32 v[176:177], v[114:115], v[128:129] op_sel:[0,1] op_sel_hi:[1,0]
	v_pk_add_f32 v[114:115], v[114:115], v[128:129] op_sel:[0,1] op_sel_hi:[1,0] neg_lo:[0,1] neg_hi:[0,1]
	v_pk_mul_f32 v[128:129], v[206:207], s[8:9] op_sel_hi:[1,0]
	v_add_f32_e32 v2, v73, v4
	v_add_f32_e32 v4, v124, v3
	v_pk_add_f32 v[114:115], v[114:115], v[128:129] op_sel:[0,1] op_sel_hi:[1,0]
	v_pk_add_f32 v[128:129], v[176:177], v[128:129] op_sel:[0,1] op_sel_hi:[1,0] neg_lo:[0,1] neg_hi:[0,1]
	v_add_f32_e32 v2, v72, v2
	v_pk_mul_f32 v[72:73], v[4:5], s[6:7] op_sel_hi:[0,1]
	v_fmac_f32_e32 v7, 0x3f737871, v199
	v_fmac_f32_e32 v8, 0xbf737871, v198
	v_pk_fma_f32 v[2:3], v[2:3], s[16:17], v[72:73] op_sel_hi:[0,1,1] neg_lo:[0,0,1] neg_hi:[0,0,1]
	v_mov_b32_e32 v72, v128
	v_mov_b32_e32 v73, v115
	;; [unrolled: 1-line block ×3, first 2 shown]
	v_add_f32_e32 v4, v189, v7
	v_sub_f32_e32 v7, v8, v89
	v_pk_fma_f32 v[72:73], v[126:127], s[12:13], v[72:73] op_sel_hi:[1,0,1]
	v_pk_fma_f32 v[114:115], v[126:127], s[12:13], v[114:115] op_sel_hi:[1,0,1]
	v_add_f32_e32 v8, v88, v7
	v_mov_b32_e32 v217, v205
	v_pk_add_f32 v[124:125], v[72:73], v[180:181]
	v_pk_add_f32 v[126:127], v[114:115], v[2:3]
	v_add_f32_e32 v4, v188, v4
	v_pk_mul_f32 v[88:89], v[8:9], s[8:9] op_sel_hi:[0,1]
	v_mov_b32_e32 v205, v211
	s_barrier
	v_mov_b32_e32 v216, v210
	ds_write2_b64 v119, v[124:125], v[126:127] offset0:60 offset1:90
	v_pk_fma_f32 v[88:89], v[4:5], s[18:19], v[88:89] op_sel_hi:[0,1,1] neg_lo:[0,0,1] neg_hi:[0,0,1]
	v_pk_fma_f32 v[124:125], v[200:201], s[12:13], v[204:205] op_sel_hi:[1,0,1]
	v_pk_fma_f32 v[216:217], v[200:201], s[12:13], v[216:217] op_sel_hi:[1,0,1]
	v_pk_add_f32 v[126:127], v[212:213], v[178:179] neg_lo:[0,1] neg_hi:[0,1]
	v_pk_add_f32 v[128:129], v[124:125], v[88:89]
	ds_write2_b64 v119, v[128:129], v[126:127] offset0:120 offset1:150
	v_pk_add_f32 v[126:127], v[216:217], v[214:215] neg_lo:[0,1] neg_hi:[0,1]
	v_pk_add_f32 v[72:73], v[72:73], v[180:181] neg_lo:[0,1] neg_hi:[0,1]
	ds_write2_b64 v119, v[126:127], v[72:73] offset0:180 offset1:210
	v_pk_add_f32 v[2:3], v[114:115], v[2:3] neg_lo:[0,1] neg_hi:[0,1]
	v_pk_add_f32 v[72:73], v[124:125], v[88:89] neg_lo:[0,1] neg_hi:[0,1]
	ds_write2_b64 v131, v[2:3], v[72:73] offset0:112 offset1:142
	v_mov_b32_e32 v2, v78
	v_mov_b32_e32 v3, v30
	;; [unrolled: 1-line block ×4, first 2 shown]
	v_pk_add_f32 v[88:89], v[2:3], v[72:73] neg_lo:[0,1] neg_hi:[0,1]
	v_pk_add_f32 v[102:103], v[102:103], v[94:95]
	v_mov_b32_e32 v4, v89
	v_pk_add_f32 v[88:89], v[88:89], v[4:5]
	v_pk_add_f32 v[94:95], v[94:95], v[100:101] neg_lo:[0,1] neg_hi:[0,1]
	v_mov_b32_e32 v4, v93
	v_pk_add_f32 v[100:101], v[102:103], v[100:101]
	v_pk_add_f32 v[92:93], v[92:93], v[4:5]
	v_pk_add_f32 v[102:103], v[38:39], v[76:77] neg_lo:[0,1] neg_hi:[0,1]
	v_fma_f32 v7, -0.5, v106, v14
	v_fma_f32 v8, -0.5, v107, v13
	v_mov_b32_e32 v89, v95
	v_pk_add_f32 v[106:107], v[78:79], v[30:31] neg_lo:[0,1] neg_hi:[0,1]
	v_pk_add_f32 v[102:103], v[102:103], v[104:105]
	v_pk_add_f32 v[104:105], v[76:77], v[62:63]
	v_pk_add_f32 v[112:113], v[38:39], v[50:51] neg_lo:[0,1] neg_hi:[0,1]
	v_pk_mul_f32 v[88:89], v[88:89], s[12:13]
	v_fmamk_f32 v4, v107, 0xbf737871, v7
	v_mov_b32_e32 v93, v94
	v_pk_add_f32 v[218:219], v[212:213], v[178:179]
	v_pk_add_f32 v[220:221], v[216:217], v[214:215]
	v_pk_fma_f32 v[104:105], v[104:105], 0.5, v[116:117] op_sel_hi:[1,0,1] neg_lo:[1,0,0] neg_hi:[1,0,0]
	v_pk_mul_f32 v[114:115], v[112:113], s[6:7] op_sel_hi:[1,0]
	v_sub_f32_e32 v11, v4, v89
	v_pk_mul_f32 v[92:93], v[92:93], s[12:13]
	v_fmamk_f32 v4, v106, 0x3f737871, v8
	ds_write2_b64 v119, v[218:219], v[220:221] offset1:30
	v_pk_add_f32 v[118:119], v[104:105], v[114:115] op_sel:[0,1] op_sel_hi:[1,0] neg_lo:[0,1] neg_hi:[0,1]
	v_pk_add_f32 v[104:105], v[104:105], v[114:115] op_sel:[0,1] op_sel_hi:[1,0]
	v_pk_add_f32 v[114:115], v[76:77], v[62:63] neg_lo:[0,1] neg_hi:[0,1]
	v_add_f32_e32 v4, v93, v4
	v_pk_mul_f32 v[124:125], v[114:115], s[8:9] op_sel_hi:[1,0]
	v_add_f32_e32 v4, v92, v4
	v_pk_add_f32 v[104:105], v[104:105], v[124:125] op_sel:[0,1] op_sel_hi:[1,0]
	v_pk_add_f32 v[118:119], v[118:119], v[124:125] op_sel:[0,1] op_sel_hi:[1,0] neg_lo:[0,1] neg_hi:[0,1]
	v_pk_mul_f32 v[124:125], v[4:5], s[8:9] op_sel_hi:[0,1]
	v_add_f32_e32 v4, v88, v11
	v_pk_add_f32 v[2:3], v[72:73], v[2:3] neg_lo:[0,1] neg_hi:[0,1]
	v_pk_fma_f32 v[126:127], v[4:5], s[14:15], v[124:125] neg_lo:[0,0,1] neg_hi:[0,0,1]
	v_pk_fma_f32 v[124:125], v[4:5], s[14:15], v[124:125] op_sel_hi:[0,1,1]
	v_mov_b32_e32 v4, v3
	v_mov_b32_e32 v11, v14
	v_pk_add_f32 v[14:15], v[60:61], v[26:27] neg_lo:[0,1] neg_hi:[0,1]
	v_pk_add_f32 v[2:3], v[2:3], v[4:5]
	v_mov_b32_e32 v4, v15
	v_pk_add_f32 v[100:101], v[100:101], v[30:31]
	v_pk_add_f32 v[30:31], v[78:79], v[30:31]
	;; [unrolled: 1-line block ×3, first 2 shown]
	v_mov_b32_e32 v127, v125
	v_pk_add_f32 v[124:125], v[116:117], v[38:39]
	v_fmac_f32_e32 v11, -0.5, v30
	v_fmac_f32_e32 v13, -0.5, v31
	v_mov_b32_e32 v3, v107
	v_mov_b32_e32 v15, v106
	v_pk_add_f32 v[124:125], v[124:125], v[76:77]
	v_fmamk_f32 v4, v95, 0x3f737871, v11
	v_fmamk_f32 v12, v94, 0xbf737871, v13
	v_pk_mul_f32 v[2:3], v[2:3], s[12:13]
	v_pk_mul_f32 v[14:15], v[14:15], s[12:13]
	v_pk_add_f32 v[124:125], v[124:125], v[62:63]
	v_mov_b32_e32 v128, v118
	v_mov_b32_e32 v129, v105
	v_sub_f32_e32 v17, v4, v3
	v_add_f32_e32 v4, v15, v12
	v_pk_add_f32 v[124:125], v[124:125], v[50:51]
	v_pk_fma_f32 v[128:129], v[102:103], s[12:13], v[128:129] op_sel_hi:[1,0,1]
	v_pk_add_f32 v[26:27], v[76:77], v[38:39] neg_lo:[0,1] neg_hi:[0,1]
	v_pk_add_f32 v[30:31], v[62:63], v[50:51] neg_lo:[0,1] neg_hi:[0,1]
	v_add_f32_e32 v4, v14, v4
	v_pk_add_f32 v[130:131], v[124:125], v[100:101]
	v_pk_add_f32 v[176:177], v[128:129], v[126:127]
	v_fmac_f32_e32 v11, 0xbf737871, v95
	v_pk_add_f32 v[26:27], v[26:27], v[30:31]
	v_pk_mul_f32 v[30:31], v[4:5], s[6:7] op_sel_hi:[0,1]
	v_add_f32_e32 v4, v2, v17
	ds_write2_b64 v91, v[130:131], v[176:177] offset1:30
	v_pk_add_f32 v[130:131], v[38:39], v[50:51]
	v_fmac_f32_e32 v13, 0x3f737871, v94
	v_pk_fma_f32 v[38:39], v[4:5], s[10:11], v[30:31] neg_lo:[0,0,1] neg_hi:[0,0,1]
	v_pk_fma_f32 v[30:31], v[4:5], s[10:11], v[30:31] op_sel_hi:[0,1,1]
	v_add_f32_e32 v3, v3, v11
	v_pk_fma_f32 v[116:117], v[130:131], 0.5, v[116:117] op_sel_hi:[1,0,1] neg_lo:[1,0,0] neg_hi:[1,0,0]
	v_mov_b32_e32 v39, v31
	v_pk_mul_f32 v[30:31], v[114:115], s[6:7] op_sel_hi:[1,0]
	v_add_f32_e32 v2, v2, v3
	v_sub_f32_e32 v3, v13, v15
	v_pk_add_f32 v[50:51], v[116:117], v[30:31] op_sel:[0,1] op_sel_hi:[1,0]
	v_pk_add_f32 v[30:31], v[116:117], v[30:31] op_sel:[0,1] op_sel_hi:[1,0] neg_lo:[0,1] neg_hi:[0,1]
	v_pk_mul_f32 v[60:61], v[112:113], s[8:9] op_sel_hi:[1,0]
	v_add_f32_e32 v4, v14, v3
	v_pk_add_f32 v[30:31], v[30:31], v[60:61] op_sel:[0,1] op_sel_hi:[1,0]
	v_pk_add_f32 v[50:51], v[50:51], v[60:61] op_sel:[0,1] op_sel_hi:[1,0] neg_lo:[0,1] neg_hi:[0,1]
	v_pk_mul_f32 v[12:13], v[4:5], s[6:7] op_sel_hi:[0,1]
	v_pk_fma_f32 v[2:3], v[2:3], s[16:17], v[12:13] op_sel_hi:[0,1,1] neg_lo:[0,0,1] neg_hi:[0,0,1]
	v_mov_b32_e32 v12, v50
	v_mov_b32_e32 v13, v31
	;; [unrolled: 1-line block ×3, first 2 shown]
	v_fmac_f32_e32 v7, 0x3f737871, v107
	v_fmac_f32_e32 v8, 0xbf737871, v106
	v_pk_fma_f32 v[12:13], v[26:27], s[12:13], v[12:13] op_sel_hi:[1,0,1]
	v_pk_fma_f32 v[14:15], v[26:27], s[12:13], v[30:31] op_sel_hi:[1,0,1]
	v_add_f32_e32 v4, v89, v7
	v_sub_f32_e32 v7, v8, v93
	v_pk_add_f32 v[26:27], v[12:13], v[38:39]
	v_pk_add_f32 v[30:31], v[14:15], v[2:3]
	v_add_f32_e32 v8, v92, v7
	ds_write2_b64 v91, v[26:27], v[30:31] offset0:60 offset1:90
	v_add_f32_e32 v4, v88, v4
	v_pk_mul_f32 v[26:27], v[8:9], s[8:9] op_sel_hi:[0,1]
	v_mov_b32_e32 v105, v119
	v_pk_fma_f32 v[26:27], v[4:5], s[18:19], v[26:27] op_sel_hi:[0,1,1] neg_lo:[0,0,1] neg_hi:[0,0,1]
	v_pk_fma_f32 v[30:31], v[102:103], s[12:13], v[104:105] op_sel_hi:[1,0,1]
	v_pk_add_f32 v[50:51], v[124:125], v[100:101] neg_lo:[0,1] neg_hi:[0,1]
	v_pk_add_f32 v[60:61], v[30:31], v[26:27]
	ds_write2_b64 v91, v[60:61], v[50:51] offset0:120 offset1:150
	v_pk_add_f32 v[50:51], v[128:129], v[126:127] neg_lo:[0,1] neg_hi:[0,1]
	v_pk_add_f32 v[12:13], v[12:13], v[38:39] neg_lo:[0,1] neg_hi:[0,1]
	ds_write2_b64 v91, v[50:51], v[12:13] offset0:180 offset1:210
	v_pk_add_f32 v[2:3], v[14:15], v[2:3] neg_lo:[0,1] neg_hi:[0,1]
	v_pk_add_f32 v[12:13], v[30:31], v[26:27] neg_lo:[0,1] neg_hi:[0,1]
	v_accvgpr_read_b32 v4, a89
	v_mov_b32_e32 v17, v43
	ds_write2_b64 v4, v[2:3], v[12:13] offset0:112 offset1:142
	v_pk_add_f32 v[2:3], v[24:25], v[22:23] neg_lo:[0,1] neg_hi:[0,1]
	v_pk_add_f32 v[12:13], v[16:17], v[18:19] neg_lo:[0,1] neg_hi:[0,1]
	v_mov_b32_e32 v14, v46
	v_pk_add_f32 v[2:3], v[2:3], v[12:13]
	v_mov_b32_e32 v12, v28
	v_mov_b32_e32 v13, v6
	;; [unrolled: 1-line block ×3, first 2 shown]
	v_pk_add_f32 v[26:27], v[12:13], v[14:15] neg_lo:[0,1] neg_hi:[0,1]
	v_mov_b32_e32 v11, v9
	v_mov_b32_e32 v4, v27
	v_pk_add_f32 v[26:27], v[26:27], v[4:5]
	v_mov_b32_e32 v4, v33
	v_pk_add_f32 v[32:33], v[4:5], v[20:21] neg_lo:[0,1] neg_hi:[0,1]
	v_mov_b32_e32 v7, v5
	v_mov_b32_e32 v8, v33
	v_pk_add_f32 v[32:33], v[32:33], v[8:9]
	v_pk_add_f32 v[30:31], v[10:11], v[28:29]
	v_fma_f32 v8, -0.5, v34, v10
	v_fma_f32 v11, -0.5, v35, v9
	v_mov_b32_e32 v27, v37
	v_pk_add_f32 v[34:35], v[28:29], v[6:7] neg_lo:[0,1] neg_hi:[0,1]
	v_mov_b32_e32 v33, v36
	v_pk_add_f32 v[30:31], v[30:31], v[46:47]
	v_pk_mul_f32 v[26:27], v[26:27], s[12:13]
	v_fmamk_f32 v72, v35, 0xbf737871, v8
	v_fmac_f32_e32 v8, 0x3f737871, v35
	v_pk_mul_f32 v[32:33], v[32:33], s[12:13]
	v_fmamk_f32 v73, v34, 0x3f737871, v11
	v_fmac_f32_e32 v11, 0xbf737871, v34
	v_pk_add_f32 v[30:31], v[30:31], v[40:41]
	v_add_f32_e32 v40, v27, v8
	v_sub_f32_e32 v8, v11, v33
	v_add_f32_e32 v8, v32, v8
	v_pk_mul_f32 v[38:39], v[8:9], s[8:9] op_sel_hi:[0,1]
	v_add_f32_e32 v8, v26, v40
	v_pk_fma_f32 v[38:39], v[8:9], s[18:19], v[38:39] op_sel_hi:[0,1,1] neg_lo:[0,0,1] neg_hi:[0,0,1]
	v_sub_f32_e32 v8, v72, v27
	v_add_f32_e32 v11, v33, v73
	v_add_f32_e32 v8, v26, v8
	;; [unrolled: 1-line block ×3, first 2 shown]
	v_pk_mul_f32 v[26:27], v[26:27], s[8:9] op_sel_hi:[0,1]
	v_pk_add_f32 v[12:13], v[14:15], v[12:13] neg_lo:[0,1] neg_hi:[0,1]
	v_pk_fma_f32 v[32:33], v[8:9], s[14:15], v[26:27] neg_lo:[0,0,1] neg_hi:[0,0,1]
	v_pk_fma_f32 v[26:27], v[8:9], s[14:15], v[26:27] op_sel_hi:[0,1,1]
	v_mov_b32_e32 v8, v13
	v_pk_add_f32 v[40:41], v[22:23], v[18:19]
	v_pk_add_f32 v[30:31], v[30:31], v[6:7]
	;; [unrolled: 1-line block ×4, first 2 shown]
	v_mov_b32_e32 v8, v10
	v_pk_add_f32 v[4:5], v[20:21], v[4:5] neg_lo:[0,1] neg_hi:[0,1]
	v_pk_fma_f32 v[40:41], v[40:41], 0.5, v[0:1] op_sel_hi:[1,0,1] neg_lo:[1,0,0] neg_hi:[1,0,0]
	v_pk_add_f32 v[42:43], v[24:25], v[16:17] neg_lo:[0,1] neg_hi:[0,1]
	v_fmac_f32_e32 v8, -0.5, v6
	v_mov_b32_e32 v6, v5
	v_pk_fma_f32 v[44:45], v[42:43], s[6:7], v[40:41] op_sel:[1,0,0] op_sel_hi:[0,0,1]
	v_pk_fma_f32 v[40:41], v[42:43], s[6:7], v[40:41] op_sel:[1,0,0] op_sel_hi:[0,0,1] neg_lo:[1,0,0] neg_hi:[1,0,0]
	v_pk_add_f32 v[46:47], v[22:23], v[18:19] neg_lo:[0,1] neg_hi:[0,1]
	v_pk_add_f32 v[50:51], v[0:1], v[24:25]
	v_pk_add_f32 v[4:5], v[4:5], v[6:7]
	v_pk_fma_f32 v[40:41], v[46:47], s[8:9], v[40:41] op_sel:[1,0,0] op_sel_hi:[0,0,1] neg_lo:[1,0,0] neg_hi:[1,0,0]
	v_pk_fma_f32 v[44:45], v[46:47], s[8:9], v[44:45] op_sel:[1,0,0] op_sel_hi:[0,0,1]
	v_pk_add_f32 v[50:51], v[50:51], v[22:23]
	v_fmac_f32_e32 v9, -0.5, v7
	v_mov_b32_e32 v5, v34
	v_mov_b32_e32 v48, v44
	;; [unrolled: 1-line block ×3, first 2 shown]
	v_pk_add_f32 v[50:51], v[50:51], v[18:19]
	v_mov_b32_e32 v41, v45
	v_mov_b32_e32 v13, v35
	v_fmamk_f32 v15, v36, 0xbf737871, v9
	v_fmac_f32_e32 v9, 0x3f737871, v36
	v_pk_mul_f32 v[4:5], v[4:5], s[12:13]
	v_pk_fma_f32 v[48:49], v[2:3], s[12:13], v[48:49] op_sel_hi:[1,0,1]
	v_pk_add_f32 v[50:51], v[50:51], v[16:17]
	v_mov_b32_e32 v33, v27
	v_pk_fma_f32 v[2:3], v[2:3], s[12:13], v[40:41] op_sel_hi:[1,0,1]
	v_fmamk_f32 v14, v37, 0x3f737871, v8
	v_fmac_f32_e32 v8, 0xbf737871, v37
	v_sub_f32_e32 v9, v9, v5
	v_pk_mul_f32 v[6:7], v[12:13], s[12:13]
	v_pk_add_f32 v[60:61], v[50:51], v[30:31] neg_lo:[0,1] neg_hi:[0,1]
	v_pk_add_f32 v[30:31], v[50:51], v[30:31]
	v_pk_add_f32 v[26:27], v[2:3], v[32:33]
	v_add_f32_e32 v10, v7, v8
	v_add_f32_e32 v8, v4, v9
	ds_write2_b64 v75, v[30:31], v[26:27] offset1:30
	v_pk_add_f32 v[26:27], v[24:25], v[16:17]
	v_pk_mul_f32 v[8:9], v[8:9], s[6:7] op_sel_hi:[0,1]
	v_add_f32_e32 v10, v6, v10
	v_add_f32_e32 v5, v5, v15
	v_pk_fma_f32 v[0:1], v[26:27], 0.5, v[0:1] op_sel_hi:[1,0,1] neg_lo:[1,0,0] neg_hi:[1,0,0]
	v_pk_fma_f32 v[8:9], v[10:11], s[16:17], v[8:9] op_sel_hi:[0,1,1] neg_lo:[0,0,1] neg_hi:[0,0,1]
	v_pk_add_f32 v[10:11], v[22:23], v[24:25] neg_lo:[0,1] neg_hi:[0,1]
	v_pk_add_f32 v[12:13], v[18:19], v[16:17] neg_lo:[0,1] neg_hi:[0,1]
	v_sub_f32_e32 v7, v14, v7
	v_add_f32_e32 v4, v4, v5
	v_pk_add_f32 v[10:11], v[10:11], v[12:13]
	v_pk_fma_f32 v[12:13], v[46:47], s[6:7], v[0:1] op_sel:[1,0,0] op_sel_hi:[0,0,1] neg_lo:[1,0,0] neg_hi:[1,0,0]
	v_pk_fma_f32 v[0:1], v[46:47], s[6:7], v[0:1] op_sel:[1,0,0] op_sel_hi:[0,0,1]
	v_add_f32_e32 v6, v6, v7
	v_pk_mul_f32 v[4:5], v[4:5], s[6:7] op_sel_hi:[0,1]
	v_pk_fma_f32 v[0:1], v[42:43], s[8:9], v[0:1] op_sel:[1,0,0] op_sel_hi:[0,0,1] neg_lo:[1,0,0] neg_hi:[1,0,0]
	v_pk_fma_f32 v[12:13], v[42:43], s[8:9], v[12:13] op_sel:[1,0,0] op_sel_hi:[0,0,1]
	v_pk_fma_f32 v[14:15], v[6:7], s[10:11], v[4:5] neg_lo:[0,0,1] neg_hi:[0,0,1]
	v_pk_fma_f32 v[4:5], v[6:7], s[10:11], v[4:5] op_sel_hi:[0,1,1]
	v_mov_b32_e32 v15, v5
	v_mov_b32_e32 v5, v1
	v_mov_b32_e32 v1, v13
	v_mov_b32_e32 v4, v12
	v_pk_fma_f32 v[0:1], v[10:11], s[12:13], v[0:1] op_sel_hi:[1,0,1]
	v_pk_fma_f32 v[4:5], v[10:11], s[12:13], v[4:5] op_sel_hi:[1,0,1]
	v_pk_add_f32 v[10:11], v[0:1], v[14:15]
	v_pk_add_f32 v[2:3], v[2:3], v[32:33] neg_lo:[0,1] neg_hi:[0,1]
	v_pk_add_f32 v[0:1], v[0:1], v[14:15] neg_lo:[0,1] neg_hi:[0,1]
	v_pk_add_f32 v[62:63], v[48:49], v[38:39]
	v_pk_add_f32 v[6:7], v[4:5], v[8:9]
	ds_write2_b64 v75, v[2:3], v[0:1] offset0:180 offset1:210
	v_pk_add_f32 v[0:1], v[48:49], v[38:39] neg_lo:[0,1] neg_hi:[0,1]
	v_pk_add_f32 v[2:3], v[4:5], v[8:9] neg_lo:[0,1] neg_hi:[0,1]
	v_accvgpr_read_b32 v4, a88
	ds_write2_b64 v75, v[62:63], v[60:61] offset0:120 offset1:150
	ds_write2_b64 v75, v[10:11], v[6:7] offset0:60 offset1:90
	;; [unrolled: 1-line block ×3, first 2 shown]
	s_waitcnt lgkmcnt(0)
	s_barrier
	ds_read2_b64 v[0:3], v175 offset0:132 offset1:222
	ds_read2_b64 v[4:7], v163 offset0:8 offset1:98
	ds_read2_b64 v[10:13], v147 offset0:84 offset1:174
	ds_read2_b64 v[14:17], v143 offset0:88 offset1:178
	ds_read2_b64 v[28:31], v123 offset0:160 offset1:250
	s_waitcnt lgkmcnt(4)
	v_pk_mul_f32 v[8:9], v[64:65], v[0:1] op_sel:[1,0]
	ds_read2_b64 v[32:35], v135 offset0:36 offset1:126
	v_pk_fma_f32 v[24:25], v[64:65], v[0:1], v[8:9] op_sel:[0,0,1] op_sel_hi:[1,1,0]
	v_pk_fma_f32 v[40:41], v[64:65], v[0:1], v[8:9] op_sel:[0,0,1] op_sel_hi:[0,1,0] neg_lo:[0,0,1] neg_hi:[0,0,1]
	v_accvgpr_read_b32 v0, a120
	s_waitcnt lgkmcnt(4)
	v_pk_mul_f32 v[0:1], v[0:1], v[4:5] op_sel_hi:[0,1]
	v_pk_fma_f32 v[42:43], v[66:67], v[4:5], v[0:1] op_sel:[0,0,1] op_sel_hi:[1,1,0]
	v_pk_fma_f32 v[44:45], v[66:67], v[4:5], v[0:1] op_sel:[0,0,1] op_sel_hi:[0,1,0] neg_lo:[0,0,1] neg_hi:[0,0,1]
	v_pk_mul_f32 v[0:1], v[68:69], v[2:3] op_sel:[1,0]
	s_waitcnt lgkmcnt(1)
	v_pk_mul_f32 v[20:21], v[108:109], v[30:31] op_sel:[1,0]
	v_pk_fma_f32 v[18:19], v[68:69], v[2:3], v[0:1] op_sel:[0,0,1] op_sel_hi:[1,1,0]
	v_pk_fma_f32 v[46:47], v[68:69], v[2:3], v[0:1] op_sel:[0,0,1] op_sel_hi:[0,1,0] neg_lo:[0,0,1] neg_hi:[0,0,1]
	v_accvgpr_read_b32 v0, a108
	v_pk_mul_f32 v[0:1], v[0:1], v[6:7] op_sel_hi:[0,1]
	v_pk_mul_f32 v[2:3], v[84:85], v[12:13] op_sel:[1,0]
	v_pk_fma_f32 v[48:49], v[70:71], v[6:7], v[0:1] op_sel:[0,0,1] op_sel_hi:[1,1,0]
	v_pk_fma_f32 v[50:51], v[70:71], v[6:7], v[0:1] op_sel:[0,0,1] op_sel_hi:[0,1,0] neg_lo:[0,0,1] neg_hi:[0,0,1]
	v_pk_fma_f32 v[0:1], v[84:85], v[12:13], v[2:3] op_sel:[0,0,1] op_sel_hi:[1,1,0]
	v_pk_fma_f32 v[4:5], v[84:85], v[12:13], v[2:3] op_sel:[0,0,1] op_sel_hi:[0,1,0] neg_lo:[0,0,1] neg_hi:[0,0,1]
	v_accvgpr_read_b32 v2, a136
	v_pk_mul_f32 v[6:7], v[2:3], v[16:17] op_sel_hi:[0,1]
	v_accvgpr_read_b32 v4, a124
	v_pk_fma_f32 v[2:3], v[86:87], v[16:17], v[6:7] op_sel:[0,0,1] op_sel_hi:[1,1,0]
	v_pk_fma_f32 v[6:7], v[86:87], v[16:17], v[6:7] op_sel:[0,0,1] op_sel_hi:[0,1,0] neg_lo:[0,0,1] neg_hi:[0,0,1]
	v_pk_mul_f32 v[12:13], v[80:81], v[10:11] op_sel:[1,0]
	v_pk_mul_f32 v[16:17], v[4:5], v[14:15] op_sel_hi:[0,1]
	v_pk_fma_f32 v[8:9], v[80:81], v[10:11], v[12:13] op_sel:[0,0,1] op_sel_hi:[1,1,0]
	v_pk_fma_f32 v[10:11], v[80:81], v[10:11], v[12:13] op_sel:[0,0,1] op_sel_hi:[0,1,0] neg_lo:[0,0,1] neg_hi:[0,0,1]
	v_pk_fma_f32 v[12:13], v[82:83], v[14:15], v[16:17] op_sel:[0,0,1] op_sel_hi:[1,1,0]
	v_pk_fma_f32 v[14:15], v[82:83], v[14:15], v[16:17] op_sel:[0,0,1] op_sel_hi:[0,1,0] neg_lo:[0,0,1] neg_hi:[0,0,1]
	;; [unrolled: 2-line block ×3, first 2 shown]
	v_accvgpr_read_b32 v4, a142
	v_pk_mul_f32 v[30:31], v[96:97], v[28:29] op_sel:[1,0]
	s_waitcnt lgkmcnt(0)
	v_pk_mul_f32 v[26:27], v[4:5], v[34:35] op_sel_hi:[0,1]
	v_pk_fma_f32 v[60:61], v[96:97], v[28:29], v[30:31] op_sel:[0,0,1] op_sel_hi:[1,1,0]
	v_pk_fma_f32 v[62:63], v[96:97], v[28:29], v[30:31] op_sel:[0,0,1] op_sel_hi:[0,1,0] neg_lo:[0,0,1] neg_hi:[0,0,1]
	ds_read2_b64 v[28:31], v55 offset0:108 offset1:198
	v_pk_fma_f32 v[20:21], v[110:111], v[34:35], v[26:27] op_sel:[0,0,1] op_sel_hi:[1,1,0]
	v_pk_fma_f32 v[26:27], v[110:111], v[34:35], v[26:27] op_sel:[0,0,1] op_sel_hi:[0,1,0] neg_lo:[0,0,1] neg_hi:[0,0,1]
	ds_read2_b64 v[34:37], v151 offset0:112 offset1:202
	v_accvgpr_read_b32 v4, a130
	v_pk_mul_f32 v[38:39], v[4:5], v[32:33] op_sel_hi:[0,1]
	v_pk_fma_f32 v[64:65], v[98:99], v[32:33], v[38:39] op_sel:[0,0,1] op_sel_hi:[1,1,0]
	v_pk_fma_f32 v[68:69], v[98:99], v[32:33], v[38:39] op_sel:[0,0,1] op_sel_hi:[0,1,0] neg_lo:[0,0,1] neg_hi:[0,0,1]
	s_waitcnt lgkmcnt(1)
	v_pk_mul_f32 v[32:33], v[136:137], v[30:31] op_sel:[1,0]
	v_accvgpr_read_b32 v4, a162
	v_pk_fma_f32 v[72:73], v[136:137], v[30:31], v[32:33] op_sel:[0,0,1] op_sel_hi:[1,1,0]
	v_pk_fma_f32 v[74:75], v[136:137], v[30:31], v[32:33] op_sel:[0,0,1] op_sel_hi:[0,1,0] neg_lo:[0,0,1] neg_hi:[0,0,1]
	s_waitcnt lgkmcnt(0)
	v_pk_mul_f32 v[30:31], v[4:5], v[36:37] op_sel_hi:[0,1]
	v_pk_fma_f32 v[76:77], v[138:139], v[36:37], v[30:31] op_sel:[0,0,1] op_sel_hi:[1,1,0]
	v_pk_fma_f32 v[78:79], v[138:139], v[36:37], v[30:31] op_sel:[0,0,1] op_sel_hi:[0,1,0] neg_lo:[0,0,1] neg_hi:[0,0,1]
	v_pk_mul_f32 v[30:31], v[56:57], v[28:29] op_sel:[1,0]
	ds_read2_b64 v[36:39], v155 offset0:60 offset1:150
	v_pk_fma_f32 v[80:81], v[56:57], v[28:29], v[30:31] op_sel:[0,0,1] op_sel_hi:[1,1,0]
	v_pk_fma_f32 v[56:57], v[56:57], v[28:29], v[30:31] op_sel:[0,0,1] op_sel_hi:[0,1,0] neg_lo:[0,0,1] neg_hi:[0,0,1]
	ds_read2_b64 v[28:31], v159 offset0:56 offset1:146
	v_accvgpr_read_b32 v4, a152
	v_pk_mul_f32 v[32:33], v[4:5], v[34:35] op_sel_hi:[0,1]
	v_pk_fma_f32 v[84:85], v[58:59], v[34:35], v[32:33] op_sel:[0,0,1] op_sel_hi:[1,1,0]
	v_pk_fma_f32 v[88:89], v[58:59], v[34:35], v[32:33] op_sel:[0,0,1] op_sel_hi:[0,1,0] neg_lo:[0,0,1] neg_hi:[0,0,1]
	s_waitcnt lgkmcnt(0)
	v_pk_mul_f32 v[32:33], v[52:53], v[28:29] op_sel:[1,0]
	v_accvgpr_read_b32 v4, a156
	v_pk_fma_f32 v[90:91], v[52:53], v[28:29], v[32:33] op_sel:[0,0,1] op_sel_hi:[1,1,0]
	v_pk_fma_f32 v[52:53], v[52:53], v[28:29], v[32:33] op_sel:[0,0,1] op_sel_hi:[0,1,0] neg_lo:[0,0,1] neg_hi:[0,0,1]
	v_pk_mul_f32 v[28:29], v[4:5], v[36:37] op_sel_hi:[0,1]
	v_pk_fma_f32 v[92:93], v[54:55], v[36:37], v[28:29] op_sel:[0,0,1] op_sel_hi:[1,1,0]
	v_pk_fma_f32 v[94:95], v[54:55], v[36:37], v[28:29] op_sel:[0,0,1] op_sel_hi:[0,1,0] neg_lo:[0,0,1] neg_hi:[0,0,1]
	v_pk_mul_f32 v[28:29], v[120:121], v[30:31] op_sel:[1,0]
	v_accvgpr_read_b32 v4, a146
	v_pk_fma_f32 v[96:97], v[120:121], v[30:31], v[28:29] op_sel:[0,0,1] op_sel_hi:[1,1,0]
	v_pk_fma_f32 v[100:101], v[120:121], v[30:31], v[28:29] op_sel:[0,0,1] op_sel_hi:[0,1,0] neg_lo:[0,0,1] neg_hi:[0,0,1]
	v_pk_mul_f32 v[28:29], v[4:5], v[38:39] op_sel_hi:[0,1]
	v_pk_fma_f32 v[102:103], v[122:123], v[38:39], v[28:29] op_sel:[0,0,1] op_sel_hi:[1,1,0]
	v_pk_fma_f32 v[104:105], v[122:123], v[38:39], v[28:29] op_sel:[0,0,1] op_sel_hi:[0,1,0] neg_lo:[0,0,1] neg_hi:[0,0,1]
	ds_read2_b64 v[28:31], v196 offset1:90
	v_mov_b32_e32 v25, v41
	v_mov_b32_e32 v43, v45
	;; [unrolled: 1-line block ×4, first 2 shown]
	s_waitcnt lgkmcnt(0)
	v_pk_add_f32 v[32:33], v[28:29], v[24:25]
	v_mov_b32_e32 v91, v53
	v_pk_add_f32 v[50:51], v[32:33], v[42:43]
	v_pk_add_f32 v[32:33], v[24:25], v[42:43]
	v_pk_add_f32 v[24:25], v[24:25], v[42:43] neg_lo:[0,1] neg_hi:[0,1]
	v_pk_fma_f32 v[28:29], v[32:33], 0.5, v[28:29] op_sel_hi:[1,0,1] neg_lo:[1,0,0] neg_hi:[1,0,0]
	v_pk_mul_f32 v[24:25], v[24:25], s[2:3] op_sel_hi:[1,0]
	ds_read2_b64 v[32:35], v167 offset0:52 offset1:142
	ds_read2_b64 v[36:39], v111 offset0:80 offset1:170
	;; [unrolled: 1-line block ×4, first 2 shown]
	v_pk_add_f32 v[106:107], v[28:29], v[24:25] op_sel:[0,1] op_sel_hi:[1,0]
	v_pk_add_f32 v[24:25], v[28:29], v[24:25] op_sel:[0,1] op_sel_hi:[1,0] neg_lo:[0,1] neg_hi:[0,1]
	v_mov_b32_e32 v29, v107
	v_mov_b32_e32 v28, v24
	;; [unrolled: 1-line block ×3, first 2 shown]
	v_pk_add_f32 v[24:25], v[30:31], v[18:19]
	s_waitcnt lgkmcnt(0)
	v_pk_add_f32 v[24:25], v[24:25], v[48:49]
	s_barrier
	ds_write_b64 v196, v[28:29] offset:2400
	ds_write_b64 v196, v[106:107] offset:4800
	ds_write2_b64 v196, v[50:51], v[24:25] offset1:90
	v_pk_add_f32 v[24:25], v[18:19], v[48:49]
	v_pk_add_f32 v[18:19], v[18:19], v[48:49] neg_lo:[0,1] neg_hi:[0,1]
	v_pk_fma_f32 v[24:25], v[24:25], 0.5, v[30:31] op_sel_hi:[1,0,1] neg_lo:[1,0,0] neg_hi:[1,0,0]
	v_pk_mul_f32 v[18:19], v[18:19], s[2:3] op_sel_hi:[1,0]
	v_mov_b32_e32 v93, v95
	v_pk_add_f32 v[28:29], v[24:25], v[18:19] op_sel:[0,1] op_sel_hi:[1,0]
	v_pk_add_f32 v[18:19], v[24:25], v[18:19] op_sel:[0,1] op_sel_hi:[1,0] neg_lo:[0,1] neg_hi:[0,1]
	v_pk_add_f32 v[24:25], v[32:33], v[90:91]
	v_pk_add_f32 v[30:31], v[90:91], v[92:93] neg_lo:[0,1] neg_hi:[0,1]
	v_pk_add_f32 v[24:25], v[24:25], v[92:93]
	ds_write_b64 v196, v[24:25] offset:1440
	v_pk_add_f32 v[24:25], v[90:91], v[92:93]
	v_pk_mul_f32 v[30:31], v[30:31], s[2:3] op_sel_hi:[1,0]
	v_pk_fma_f32 v[24:25], v[24:25], 0.5, v[32:33] op_sel_hi:[1,0,1] neg_lo:[1,0,0] neg_hi:[1,0,0]
	v_mov_b32_e32 v97, v101
	v_pk_add_f32 v[32:33], v[24:25], v[30:31] op_sel:[0,1] op_sel_hi:[1,0]
	v_pk_add_f32 v[24:25], v[24:25], v[30:31] op_sel:[0,1] op_sel_hi:[1,0] neg_lo:[0,1] neg_hi:[0,1]
	v_mov_b32_e32 v49, v33
	v_mov_b32_e32 v48, v24
	;; [unrolled: 1-line block ×4, first 2 shown]
	v_pk_add_f32 v[24:25], v[34:35], v[96:97]
	v_mov_b32_e32 v30, v18
	v_mov_b32_e32 v31, v29
	;; [unrolled: 1-line block ×3, first 2 shown]
	v_pk_add_f32 v[24:25], v[24:25], v[102:103]
	ds_write2_b64 v87, v[30:31], v[48:49] offset0:134 offset1:224
	ds_write2_b64 v111, v[28:29], v[32:33] offset0:50 offset1:140
	v_pk_add_f32 v[18:19], v[96:97], v[102:103]
	ds_write_b64 v99, v[24:25]
	v_pk_add_f32 v[24:25], v[96:97], v[102:103] neg_lo:[0,1] neg_hi:[0,1]
	v_pk_fma_f32 v[18:19], v[18:19], 0.5, v[34:35] op_sel_hi:[1,0,1] neg_lo:[1,0,0] neg_hi:[1,0,0]
	v_pk_mul_f32 v[24:25], v[24:25], s[2:3] op_sel_hi:[1,0]
	v_mov_b32_e32 v73, v75
	v_pk_add_f32 v[28:29], v[18:19], v[24:25] op_sel:[0,1] op_sel_hi:[1,0] neg_lo:[0,1] neg_hi:[0,1]
	v_pk_add_f32 v[18:19], v[18:19], v[24:25] op_sel:[0,1] op_sel_hi:[1,0]
	v_mov_b32_e32 v81, v57
	v_mov_b32_e32 v24, v28
	;; [unrolled: 1-line block ×6, first 2 shown]
	v_pk_add_f32 v[28:29], v[44:45], v[80:81]
	v_pk_add_f32 v[30:31], v[46:47], v[72:73]
	;; [unrolled: 1-line block ×4, first 2 shown]
	v_accvgpr_read_b32 v94, a1
	ds_write_b64 v99, v[24:25] offset:2400
	ds_write_b64 v99, v[18:19] offset:4800
	v_pk_add_f32 v[18:19], v[72:73], v[76:77]
	ds_write2_b64 v94, v[28:29], v[30:31] offset0:64 offset1:154
	v_pk_add_f32 v[28:29], v[72:73], v[76:77] neg_lo:[0,1] neg_hi:[0,1]
	v_pk_fma_f32 v[18:19], v[18:19], 0.5, v[46:47] op_sel_hi:[1,0,1] neg_lo:[1,0,0] neg_hi:[1,0,0]
	v_pk_mul_f32 v[28:29], v[28:29], s[2:3] op_sel_hi:[1,0]
	v_pk_add_f32 v[24:25], v[80:81], v[84:85]
	v_pk_add_f32 v[30:31], v[18:19], v[28:29] op_sel:[0,1] op_sel_hi:[1,0]
	v_pk_add_f32 v[18:19], v[18:19], v[28:29] op_sel:[0,1] op_sel_hi:[1,0] neg_lo:[0,1] neg_hi:[0,1]
	v_pk_add_f32 v[28:29], v[80:81], v[84:85] neg_lo:[0,1] neg_hi:[0,1]
	v_pk_fma_f32 v[24:25], v[24:25], 0.5, v[44:45] op_sel_hi:[1,0,1] neg_lo:[1,0,0] neg_hi:[1,0,0]
	v_pk_mul_f32 v[28:29], v[28:29], s[2:3] op_sel_hi:[1,0]
	v_mov_b32_e32 v61, v63
	v_pk_add_f32 v[32:33], v[24:25], v[28:29] op_sel:[0,1] op_sel_hi:[1,0]
	v_pk_add_f32 v[24:25], v[24:25], v[28:29] op_sel:[0,1] op_sel_hi:[1,0] neg_lo:[0,1] neg_hi:[0,1]
	v_mov_b32_e32 v65, v69
	v_mov_b32_e32 v28, v24
	;; [unrolled: 1-line block ×7, first 2 shown]
	v_pk_add_f32 v[18:19], v[60:61], v[64:65]
	v_pk_add_f32 v[24:25], v[60:61], v[64:65] neg_lo:[0,1] neg_hi:[0,1]
	v_pk_fma_f32 v[18:19], v[18:19], 0.5, v[40:41] op_sel_hi:[1,0,1] neg_lo:[1,0,0] neg_hi:[1,0,0]
	v_pk_mul_f32 v[24:25], v[24:25], s[2:3] op_sel_hi:[1,0]
	ds_write2_b64 v55, v[28:29], v[34:35] offset0:108 offset1:198
	v_pk_add_f32 v[28:29], v[18:19], v[24:25] op_sel:[0,1] op_sel_hi:[1,0]
	v_pk_add_f32 v[18:19], v[18:19], v[24:25] op_sel:[0,1] op_sel_hi:[1,0] neg_lo:[0,1] neg_hi:[0,1]
	v_pk_add_f32 v[24:25], v[40:41], v[60:61]
	v_mov_b32_e32 v17, v23
	v_pk_add_f32 v[24:25], v[24:25], v[64:65]
	v_mov_b32_e32 v21, v27
	ds_write2_b64 v147, v[32:33], v[30:31] offset0:24 offset1:114
	ds_write_b64 v83, v[24:25]
	v_mov_b32_e32 v24, v18
	v_mov_b32_e32 v25, v29
	;; [unrolled: 1-line block ×3, first 2 shown]
	v_pk_add_f32 v[18:19], v[16:17], v[20:21]
	v_pk_add_f32 v[22:23], v[42:43], v[16:17]
	v_pk_add_f32 v[16:17], v[16:17], v[20:21] neg_lo:[0,1] neg_hi:[0,1]
	v_mov_b32_e32 v9, v11
	v_mov_b32_e32 v13, v15
	v_pk_fma_f32 v[18:19], v[18:19], 0.5, v[42:43] op_sel_hi:[1,0,1] neg_lo:[1,0,0] neg_hi:[1,0,0]
	v_pk_mul_f32 v[16:17], v[16:17], s[2:3] op_sel_hi:[1,0]
	v_pk_add_f32 v[10:11], v[8:9], v[12:13]
	v_pk_add_f32 v[14:15], v[8:9], v[12:13] neg_lo:[0,1] neg_hi:[0,1]
	ds_write_b64 v83, v[24:25] offset:2400
	v_pk_add_f32 v[24:25], v[18:19], v[16:17] op_sel:[0,1] op_sel_hi:[1,0]
	v_pk_add_f32 v[16:17], v[18:19], v[16:17] op_sel:[0,1] op_sel_hi:[1,0] neg_lo:[0,1] neg_hi:[0,1]
	v_pk_add_f32 v[18:19], v[22:23], v[20:21]
	v_pk_fma_f32 v[10:11], v[10:11], 0.5, v[36:37] op_sel_hi:[1,0,1] neg_lo:[1,0,0] neg_hi:[1,0,0]
	v_pk_mul_f32 v[14:15], v[14:15], s[2:3] op_sel_hi:[1,0]
	v_pk_add_f32 v[8:9], v[36:37], v[8:9]
	v_mov_b32_e32 v1, v5
	v_mov_b32_e32 v3, v7
	ds_write_b64 v83, v[28:29] offset:4800
	ds_write_b64 v71, v[18:19] offset:14400
	v_mov_b32_e32 v18, v16
	v_mov_b32_e32 v19, v25
	;; [unrolled: 1-line block ×3, first 2 shown]
	v_pk_add_f32 v[16:17], v[10:11], v[14:15] op_sel:[0,1] op_sel_hi:[1,0]
	v_pk_add_f32 v[10:11], v[10:11], v[14:15] op_sel:[0,1] op_sel_hi:[1,0] neg_lo:[0,1] neg_hi:[0,1]
	v_pk_add_f32 v[8:9], v[8:9], v[12:13]
	v_pk_add_f32 v[4:5], v[0:1], v[2:3]
	;; [unrolled: 1-line block ×3, first 2 shown]
	v_pk_add_f32 v[0:1], v[0:1], v[2:3] neg_lo:[0,1] neg_hi:[0,1]
	ds_write_b64 v67, v[8:9] offset:14400
	v_mov_b32_e32 v8, v10
	v_mov_b32_e32 v9, v17
	v_pk_fma_f32 v[4:5], v[4:5], 0.5, v[38:39] op_sel_hi:[1,0,1] neg_lo:[1,0,0] neg_hi:[1,0,0]
	v_pk_mul_f32 v[0:1], v[0:1], s[2:3] op_sel_hi:[1,0]
	ds_write_b64 v71, v[18:19] offset:16800
	ds_write_b64 v67, v[8:9] offset:16800
	v_pk_add_f32 v[8:9], v[4:5], v[0:1] op_sel:[0,1] op_sel_hi:[1,0]
	v_pk_add_f32 v[0:1], v[4:5], v[0:1] op_sel:[0,1] op_sel_hi:[1,0] neg_lo:[0,1] neg_hi:[0,1]
	v_pk_add_f32 v[2:3], v[6:7], v[2:3]
	v_mov_b32_e32 v17, v11
	ds_write_b64 v59, v[2:3] offset:14400
	v_mov_b32_e32 v2, v0
	v_mov_b32_e32 v3, v9
	;; [unrolled: 1-line block ×3, first 2 shown]
	ds_write_b64 v71, v[24:25] offset:19200
	ds_write_b64 v67, v[16:17] offset:19200
	ds_write_b64 v59, v[2:3] offset:16800
	ds_write_b64 v59, v[8:9] offset:19200
	s_waitcnt lgkmcnt(0)
	s_barrier
	ds_read2_b64 v[2:5], v175 offset0:132 offset1:222
	ds_read2_b64 v[6:9], v163 offset0:8 offset1:98
	s_waitcnt lgkmcnt(1)
	v_pk_mul_f32 v[10:11], v[140:141], v[2:3] op_sel:[1,0]
	s_nop 0
	v_pk_fma_f32 v[0:1], v[140:141], v[2:3], v[10:11] op_sel:[0,0,1] op_sel_hi:[1,1,0]
	v_pk_fma_f32 v[16:17], v[140:141], v[2:3], v[10:11] op_sel:[0,0,1] op_sel_hi:[0,1,0] neg_lo:[0,0,1] neg_hi:[0,0,1]
	v_accvgpr_read_b32 v2, a180
	s_waitcnt lgkmcnt(0)
	v_pk_mul_f32 v[10:11], v[2:3], v[6:7] op_sel_hi:[0,1]
	v_pk_fma_f32 v[2:3], v[142:143], v[6:7], v[10:11] op_sel:[0,0,1] op_sel_hi:[1,1,0]
	v_pk_fma_f32 v[18:19], v[142:143], v[6:7], v[10:11] op_sel:[0,0,1] op_sel_hi:[0,1,0] neg_lo:[0,0,1] neg_hi:[0,0,1]
	v_pk_mul_f32 v[6:7], v[132:133], v[4:5] op_sel:[1,0]
	v_accvgpr_read_b32 v10, a174
	v_pk_fma_f32 v[28:29], v[132:133], v[4:5], v[6:7] op_sel:[0,0,1] op_sel_hi:[1,1,0]
	v_pk_fma_f32 v[30:31], v[132:133], v[4:5], v[6:7] op_sel:[0,0,1] op_sel_hi:[0,1,0] neg_lo:[0,0,1] neg_hi:[0,0,1]
	ds_read2_b64 v[4:7], v159 offset0:56 offset1:146
	v_pk_mul_f32 v[14:15], v[10:11], v[8:9] op_sel_hi:[0,1]
	ds_read2_b64 v[10:13], v155 offset0:60 offset1:150
	v_pk_fma_f32 v[32:33], v[134:135], v[8:9], v[14:15] op_sel:[0,0,1] op_sel_hi:[1,1,0]
	v_pk_fma_f32 v[34:35], v[134:135], v[8:9], v[14:15] op_sel:[0,0,1] op_sel_hi:[0,1,0] neg_lo:[0,0,1] neg_hi:[0,0,1]
	s_waitcnt lgkmcnt(1)
	v_pk_mul_f32 v[8:9], v[156:157], v[4:5] op_sel:[1,0]
	v_mov_b32_e32 v1, v17
	v_pk_fma_f32 v[36:37], v[156:157], v[4:5], v[8:9] op_sel:[0,0,1] op_sel_hi:[1,1,0]
	v_pk_fma_f32 v[38:39], v[156:157], v[4:5], v[8:9] op_sel:[0,0,1] op_sel_hi:[0,1,0] neg_lo:[0,0,1] neg_hi:[0,0,1]
	v_accvgpr_read_b32 v4, a182
	s_waitcnt lgkmcnt(0)
	v_pk_mul_f32 v[4:5], v[4:5], v[10:11] op_sel_hi:[0,1]
	v_pk_fma_f32 v[40:41], v[158:159], v[10:11], v[4:5] op_sel:[0,0,1] op_sel_hi:[1,1,0]
	v_pk_fma_f32 v[42:43], v[158:159], v[10:11], v[4:5] op_sel:[0,0,1] op_sel_hi:[0,1,0] neg_lo:[0,0,1] neg_hi:[0,0,1]
	v_pk_mul_f32 v[4:5], v[148:149], v[6:7] op_sel:[1,0]
	v_accvgpr_read_b32 v8, a176
	v_pk_fma_f32 v[44:45], v[148:149], v[6:7], v[4:5] op_sel:[0,0,1] op_sel_hi:[1,1,0]
	v_pk_fma_f32 v[46:47], v[148:149], v[6:7], v[4:5] op_sel:[0,0,1] op_sel_hi:[0,1,0] neg_lo:[0,0,1] neg_hi:[0,0,1]
	ds_read2_b64 v[4:7], v55 offset0:108 offset1:198
	v_pk_mul_f32 v[14:15], v[8:9], v[12:13] op_sel_hi:[0,1]
	ds_read2_b64 v[8:11], v151 offset0:112 offset1:202
	v_pk_fma_f32 v[48:49], v[150:151], v[12:13], v[14:15] op_sel:[0,0,1] op_sel_hi:[1,1,0]
	v_pk_fma_f32 v[50:51], v[150:151], v[12:13], v[14:15] op_sel:[0,0,1] op_sel_hi:[0,1,0] neg_lo:[0,0,1] neg_hi:[0,0,1]
	s_waitcnt lgkmcnt(1)
	v_pk_mul_f32 v[12:13], v[164:165], v[4:5] op_sel:[1,0]
	v_mov_b32_e32 v46, v55
	v_pk_fma_f32 v[52:53], v[164:165], v[4:5], v[12:13] op_sel:[0,0,1] op_sel_hi:[1,1,0]
	v_pk_fma_f32 v[54:55], v[164:165], v[4:5], v[12:13] op_sel:[0,0,1] op_sel_hi:[0,1,0] neg_lo:[0,0,1] neg_hi:[0,0,1]
	ds_read2_b64 v[12:15], v196 offset1:90
	v_accvgpr_read_b32 v4, a186
	s_waitcnt lgkmcnt(1)
	v_pk_mul_f32 v[4:5], v[4:5], v[8:9] op_sel_hi:[0,1]
	v_pk_fma_f32 v[56:57], v[166:167], v[8:9], v[4:5] op_sel:[0,0,1] op_sel_hi:[1,1,0]
	v_pk_fma_f32 v[58:59], v[166:167], v[8:9], v[4:5] op_sel:[0,0,1] op_sel_hi:[0,1,0] neg_lo:[0,0,1] neg_hi:[0,0,1]
	v_pk_mul_f32 v[4:5], v[144:145], v[6:7] op_sel:[1,0]
	v_mov_b32_e32 v3, v19
	v_pk_fma_f32 v[60:61], v[144:145], v[6:7], v[4:5] op_sel:[0,0,1] op_sel_hi:[1,1,0]
	v_pk_fma_f32 v[62:63], v[144:145], v[6:7], v[4:5] op_sel:[0,0,1] op_sel_hi:[0,1,0] neg_lo:[0,0,1] neg_hi:[0,0,1]
	s_waitcnt lgkmcnt(0)
	v_pk_add_f32 v[4:5], v[12:13], v[0:1]
	v_mov_b32_e32 v29, v31
	v_pk_add_f32 v[8:9], v[4:5], v[2:3]
	ds_read2_b64 v[4:7], v167 offset0:52 offset1:142
	ds_read2_b64 v[16:19], v87 offset0:104 offset1:194
	ds_write_b64 v196, v[8:9]
	ds_read2_b64 v[20:23], v123 offset0:160 offset1:250
	ds_read2_b64 v[24:27], v135 offset0:36 offset1:126
	v_accvgpr_read_b32 v8, a172
	v_pk_mul_f32 v[8:9], v[8:9], v[10:11] op_sel_hi:[0,1]
	v_pk_fma_f32 v[64:65], v[146:147], v[10:11], v[8:9] op_sel:[0,0,1] op_sel_hi:[1,1,0]
	v_pk_fma_f32 v[66:67], v[146:147], v[10:11], v[8:9] op_sel:[0,0,1] op_sel_hi:[0,1,0] neg_lo:[0,0,1] neg_hi:[0,0,1]
	s_waitcnt lgkmcnt(1)
	v_pk_mul_f32 v[8:9], v[168:169], v[20:21] op_sel:[1,0]
	v_mov_b32_e32 v33, v35
	v_pk_fma_f32 v[68:69], v[168:169], v[20:21], v[8:9] op_sel:[0,0,1] op_sel_hi:[1,1,0]
	v_pk_fma_f32 v[70:71], v[168:169], v[20:21], v[8:9] op_sel:[0,0,1] op_sel_hi:[0,1,0] neg_lo:[0,0,1] neg_hi:[0,0,1]
	v_accvgpr_read_b32 v8, a184
	s_waitcnt lgkmcnt(0)
	v_pk_mul_f32 v[8:9], v[8:9], v[24:25] op_sel_hi:[0,1]
	v_pk_fma_f32 v[72:73], v[170:171], v[24:25], v[8:9] op_sel:[0,0,1] op_sel_hi:[1,1,0]
	v_pk_fma_f32 v[24:25], v[170:171], v[24:25], v[8:9] op_sel:[0,0,1] op_sel_hi:[0,1,0] neg_lo:[0,0,1] neg_hi:[0,0,1]
	v_pk_mul_f32 v[8:9], v[152:153], v[22:23] op_sel:[1,0]
	v_pk_add_f32 v[30:31], v[28:29], v[32:33]
	v_pk_fma_f32 v[74:75], v[152:153], v[22:23], v[8:9] op_sel:[0,0,1] op_sel_hi:[1,1,0]
	v_pk_fma_f32 v[76:77], v[152:153], v[22:23], v[8:9] op_sel:[0,0,1] op_sel_hi:[0,1,0] neg_lo:[0,0,1] neg_hi:[0,0,1]
	ds_read2_b64 v[8:11], v147 offset0:84 offset1:174
	v_pk_add_f32 v[34:35], v[28:29], v[32:33] neg_lo:[0,1] neg_hi:[0,1]
	v_mov_b32_e32 v37, v39
	v_mov_b32_e32 v41, v43
	v_pk_fma_f32 v[30:31], v[30:31], 0.5, v[14:15] op_sel_hi:[1,0,1] neg_lo:[1,0,0] neg_hi:[1,0,0]
	v_pk_mul_f32 v[34:35], v[34:35], s[2:3] op_sel_hi:[1,0]
	v_accvgpr_read_b32 v20, a178
	v_pk_add_f32 v[38:39], v[30:31], v[34:35] op_sel:[0,1] op_sel_hi:[1,0] neg_lo:[0,1] neg_hi:[0,1]
	v_pk_add_f32 v[30:31], v[30:31], v[34:35] op_sel:[0,1] op_sel_hi:[1,0]
	v_pk_add_f32 v[34:35], v[36:37], v[40:41]
	v_pk_mul_f32 v[78:79], v[20:21], v[26:27] op_sel_hi:[0,1]
	ds_read2_b64 v[20:23], v143 offset0:88 offset1:178
	v_pk_fma_f32 v[34:35], v[34:35], 0.5, v[4:5] op_sel_hi:[1,0,1] neg_lo:[1,0,0] neg_hi:[1,0,0]
	v_pk_add_f32 v[14:15], v[14:15], v[28:29]
	v_pk_add_f32 v[4:5], v[4:5], v[36:37]
	;; [unrolled: 1-line block ×4, first 2 shown]
	v_mov_b32_e32 v45, v47
	v_mov_b32_e32 v49, v51
	v_pk_fma_f32 v[80:81], v[154:155], v[26:27], v[78:79] op_sel:[0,0,1] op_sel_hi:[1,1,0]
	v_pk_fma_f32 v[26:27], v[154:155], v[26:27], v[78:79] op_sel:[0,0,1] op_sel_hi:[0,1,0] neg_lo:[0,0,1] neg_hi:[0,0,1]
	s_waitcnt lgkmcnt(1)
	v_pk_mul_f32 v[78:79], v[172:173], v[8:9] op_sel:[1,0]
	ds_write2_b64 v196, v[14:15], v[4:5] offset0:90 offset1:180
	v_pk_add_f32 v[4:5], v[44:45], v[48:49]
	v_mov_b32_e32 v53, v55
	v_pk_fma_f32 v[82:83], v[172:173], v[8:9], v[78:79] op_sel:[0,0,1] op_sel_hi:[1,1,0]
	v_pk_fma_f32 v[8:9], v[172:173], v[8:9], v[78:79] op_sel:[0,0,1] op_sel_hi:[0,1,0] neg_lo:[0,0,1] neg_hi:[0,0,1]
	v_pk_fma_f32 v[4:5], v[4:5], 0.5, v[6:7] op_sel_hi:[1,0,1] neg_lo:[1,0,0] neg_hi:[1,0,0]
	v_pk_add_f32 v[6:7], v[6:7], v[44:45]
	v_mov_b32_e32 v57, v59
	v_pk_add_f32 v[14:15], v[16:17], v[52:53]
	v_accvgpr_read_b32 v8, a190
	v_pk_add_f32 v[6:7], v[6:7], v[48:49]
	v_pk_add_f32 v[14:15], v[14:15], v[56:57]
	s_waitcnt lgkmcnt(1)
	v_pk_mul_f32 v[78:79], v[8:9], v[20:21] op_sel_hi:[0,1]
	ds_write2_b64 v87, v[6:7], v[14:15] offset0:14 offset1:104
	v_pk_add_f32 v[6:7], v[44:45], v[48:49] neg_lo:[0,1] neg_hi:[0,1]
	v_pk_fma_f32 v[84:85], v[174:175], v[20:21], v[78:79] op_sel:[0,0,1] op_sel_hi:[1,1,0]
	v_pk_fma_f32 v[20:21], v[174:175], v[20:21], v[78:79] op_sel:[0,0,1] op_sel_hi:[0,1,0] neg_lo:[0,0,1] neg_hi:[0,0,1]
	v_pk_mul_f32 v[78:79], v[160:161], v[10:11] op_sel:[1,0]
	v_accvgpr_read_b32 v8, a188
	v_pk_add_f32 v[42:43], v[36:37], v[40:41] neg_lo:[0,1] neg_hi:[0,1]
	v_pk_add_f32 v[28:29], v[0:1], v[2:3]
	v_pk_mul_f32 v[6:7], v[6:7], s[2:3] op_sel_hi:[1,0]
	v_pk_fma_f32 v[88:89], v[160:161], v[10:11], v[78:79] op_sel:[0,0,1] op_sel_hi:[1,1,0]
	v_pk_fma_f32 v[10:11], v[160:161], v[10:11], v[78:79] op_sel:[0,0,1] op_sel_hi:[0,1,0] neg_lo:[0,0,1] neg_hi:[0,0,1]
	v_pk_mul_f32 v[78:79], v[8:9], v[22:23] op_sel_hi:[0,1]
	v_pk_mul_f32 v[42:43], v[42:43], s[2:3] op_sel_hi:[1,0]
	v_pk_fma_f32 v[12:13], v[28:29], 0.5, v[12:13] op_sel_hi:[1,0,1] neg_lo:[1,0,0] neg_hi:[1,0,0]
	v_pk_add_f32 v[14:15], v[4:5], v[6:7] op_sel:[0,1] op_sel_hi:[1,0] neg_lo:[0,1] neg_hi:[0,1]
	v_pk_add_f32 v[4:5], v[4:5], v[6:7] op_sel:[0,1] op_sel_hi:[1,0]
	v_pk_add_f32 v[6:7], v[52:53], v[56:57]
	v_pk_add_f32 v[28:29], v[52:53], v[56:57] neg_lo:[0,1] neg_hi:[0,1]
	v_pk_fma_f32 v[90:91], v[162:163], v[22:23], v[78:79] op_sel:[0,0,1] op_sel_hi:[1,1,0]
	v_pk_fma_f32 v[22:23], v[162:163], v[22:23], v[78:79] op_sel:[0,0,1] op_sel_hi:[0,1,0] neg_lo:[0,0,1] neg_hi:[0,0,1]
	v_pk_add_f32 v[78:79], v[34:35], v[42:43] op_sel:[0,1] op_sel_hi:[1,0] neg_lo:[0,1] neg_hi:[0,1]
	v_pk_add_f32 v[34:35], v[34:35], v[42:43] op_sel:[0,1] op_sel_hi:[1,0]
	v_pk_fma_f32 v[6:7], v[6:7], 0.5, v[16:17] op_sel_hi:[1,0,1] neg_lo:[1,0,0] neg_hi:[1,0,0]
	v_pk_mul_f32 v[16:17], v[28:29], s[2:3] op_sel_hi:[1,0]
	v_mov_b32_e32 v43, v31
	v_mov_b32_e32 v93, v35
	;; [unrolled: 1-line block ×4, first 2 shown]
	v_pk_add_f32 v[28:29], v[6:7], v[16:17] op_sel:[0,1] op_sel_hi:[1,0] neg_lo:[0,1] neg_hi:[0,1]
	v_pk_add_f32 v[6:7], v[6:7], v[16:17] op_sel:[0,1] op_sel_hi:[1,0]
	ds_write2_b64 v163, v[30:31], v[34:35] offset0:98 offset1:188
	v_mov_b32_e32 v17, v5
	v_mov_b32_e32 v31, v7
	;; [unrolled: 1-line block ×4, first 2 shown]
	ds_write2_b64 v151, v[4:5], v[6:7] offset0:22 offset1:112
	ds_read2_b64 v[4:7], v139 offset0:28 offset1:118
	v_mov_b32_e32 v16, v14
	v_mov_b32_e32 v30, v28
	;; [unrolled: 1-line block ×4, first 2 shown]
	ds_write2_b64 v159, v[16:17], v[30:31] offset0:146 offset1:236
	v_mov_b32_e32 v89, v11
	v_pk_add_f32 v[10:11], v[60:61], v[64:65]
	v_pk_add_f32 v[16:17], v[60:61], v[64:65] neg_lo:[0,1] neg_hi:[0,1]
	v_mov_b32_e32 v69, v71
	v_mov_b32_e32 v75, v77
	v_pk_fma_f32 v[10:11], v[10:11], 0.5, v[18:19] op_sel_hi:[1,0,1] neg_lo:[1,0,0] neg_hi:[1,0,0]
	v_pk_mul_f32 v[16:17], v[16:17], s[2:3] op_sel_hi:[1,0]
	v_mov_b32_e32 v73, v25
	v_mov_b32_e32 v81, v27
	;; [unrolled: 1-line block ×3, first 2 shown]
	v_pk_add_f32 v[8:9], v[18:19], v[60:61]
	s_waitcnt lgkmcnt(1)
	v_pk_add_f32 v[14:15], v[4:5], v[68:69]
	v_pk_add_f32 v[18:19], v[10:11], v[16:17] op_sel:[0,1] op_sel_hi:[1,0] neg_lo:[0,1] neg_hi:[0,1]
	v_pk_add_f32 v[16:17], v[10:11], v[16:17] op_sel:[0,1] op_sel_hi:[1,0]
	v_pk_add_f32 v[10:11], v[6:7], v[74:75]
	v_mov_b32_e32 v85, v21
	v_pk_add_f32 v[8:9], v[8:9], v[64:65]
	v_pk_add_f32 v[14:15], v[14:15], v[72:73]
	;; [unrolled: 1-line block ×3, first 2 shown]
	v_accvgpr_read_b32 v10, a99
	ds_write2_b64 v10, v[8:9], v[14:15] offset0:66 offset1:156
	v_pk_add_f32 v[10:11], v[68:69], v[72:73]
	v_mov_b32_e32 v8, v18
	v_pk_fma_f32 v[4:5], v[10:11], 0.5, v[4:5] op_sel_hi:[1,0,1] neg_lo:[1,0,0] neg_hi:[1,0,0]
	v_pk_add_f32 v[10:11], v[68:69], v[72:73] neg_lo:[0,1] neg_hi:[0,1]
	v_mov_b32_e32 v9, v17
	v_pk_mul_f32 v[10:11], v[10:11], s[2:3] op_sel_hi:[1,0]
	v_pk_add_f32 v[0:1], v[0:1], v[2:3] neg_lo:[0,1] neg_hi:[0,1]
	v_pk_add_f32 v[14:15], v[4:5], v[10:11] op_sel:[0,1] op_sel_hi:[1,0] neg_lo:[0,1] neg_hi:[0,1]
	v_pk_add_f32 v[4:5], v[4:5], v[10:11] op_sel:[0,1] op_sel_hi:[1,0]
	v_mov_b32_e32 v10, v14
	v_mov_b32_e32 v11, v5
	ds_write2_b64 v123, v[8:9], v[10:11] offset0:70 offset1:160
	ds_read2_b64 v[8:11], v111 offset0:80 offset1:170
	v_pk_mul_f32 v[0:1], v[0:1], s[2:3] op_sel_hi:[1,0]
	v_mov_b32_e32 v17, v19
	v_pk_add_f32 v[2:3], v[12:13], v[0:1] op_sel:[0,1] op_sel_hi:[1,0] neg_lo:[0,1] neg_hi:[0,1]
	v_pk_add_f32 v[0:1], v[12:13], v[0:1] op_sel:[0,1] op_sel_hi:[1,0]
	v_mov_b32_e32 v12, v2
	v_mov_b32_e32 v13, v1
	;; [unrolled: 1-line block ×3, first 2 shown]
	s_waitcnt lgkmcnt(0)
	v_pk_add_f32 v[2:3], v[8:9], v[82:83]
	v_mov_b32_e32 v5, v15
	v_accvgpr_read_b32 v14, a3
	v_pk_add_f32 v[2:3], v[2:3], v[84:85]
	ds_write2_b64 v14, v[16:17], v[4:5] offset0:74 offset1:164
	v_pk_add_f32 v[4:5], v[74:75], v[80:81]
	ds_write2_b64 v139, v[20:21], v[2:3] offset0:118 offset1:208
	v_pk_fma_f32 v[4:5], v[4:5], 0.5, v[6:7] op_sel_hi:[1,0,1] neg_lo:[1,0,0] neg_hi:[1,0,0]
	v_pk_add_f32 v[6:7], v[74:75], v[80:81] neg_lo:[0,1] neg_hi:[0,1]
	v_pk_add_f32 v[2:3], v[82:83], v[84:85]
	v_pk_mul_f32 v[6:7], v[6:7], s[2:3] op_sel_hi:[1,0]
	v_pk_fma_f32 v[2:3], v[2:3], 0.5, v[8:9] op_sel_hi:[1,0,1] neg_lo:[1,0,0] neg_hi:[1,0,0]
	v_pk_add_f32 v[8:9], v[82:83], v[84:85] neg_lo:[0,1] neg_hi:[0,1]
	v_pk_add_f32 v[14:15], v[4:5], v[6:7] op_sel:[0,1] op_sel_hi:[1,0] neg_lo:[0,1] neg_hi:[0,1]
	v_pk_add_f32 v[4:5], v[4:5], v[6:7] op_sel:[0,1] op_sel_hi:[1,0]
	v_pk_mul_f32 v[8:9], v[8:9], s[2:3] op_sel_hi:[1,0]
	v_mov_b32_e32 v6, v14
	v_mov_b32_e32 v7, v5
	;; [unrolled: 1-line block ×3, first 2 shown]
	v_pk_add_f32 v[14:15], v[2:3], v[8:9] op_sel:[0,1] op_sel_hi:[1,0] neg_lo:[0,1] neg_hi:[0,1]
	v_pk_add_f32 v[2:3], v[2:3], v[8:9] op_sel:[0,1] op_sel_hi:[1,0]
	v_mov_b32_e32 v42, v38
	v_mov_b32_e32 v92, v78
	;; [unrolled: 1-line block ×3, first 2 shown]
	v_pk_add_f32 v[18:19], v[10:11], v[88:89]
	v_mov_b32_e32 v8, v14
	v_mov_b32_e32 v9, v3
	;; [unrolled: 1-line block ×3, first 2 shown]
	ds_write2_b64 v94, v[42:43], v[92:93] offset0:94 offset1:184
	v_pk_add_f32 v[18:19], v[18:19], v[90:91]
	ds_write2_b64 v171, v[6:7], v[8:9] offset0:122 offset1:212
	ds_write2_b64 v135, v[4:5], v[2:3] offset0:126 offset1:216
	;; [unrolled: 1-line block ×3, first 2 shown]
	v_pk_add_f32 v[2:3], v[88:89], v[90:91]
	v_pk_add_f32 v[4:5], v[88:89], v[90:91] neg_lo:[0,1] neg_hi:[0,1]
	v_pk_fma_f32 v[2:3], v[2:3], 0.5, v[10:11] op_sel_hi:[1,0,1] neg_lo:[1,0,0] neg_hi:[1,0,0]
	v_pk_mul_f32 v[4:5], v[4:5], s[2:3] op_sel_hi:[1,0]
	v_mov_b32_e32 v8, s0
	v_pk_add_f32 v[6:7], v[2:3], v[4:5] op_sel:[0,1] op_sel_hi:[1,0] neg_lo:[0,1] neg_hi:[0,1]
	v_pk_add_f32 v[2:3], v[2:3], v[4:5] op_sel:[0,1] op_sel_hi:[1,0]
	v_mov_b32_e32 v4, v6
	v_mov_b32_e32 v5, v3
	;; [unrolled: 1-line block ×3, first 2 shown]
	ds_write2_b64 v197, v[4:5], v[0:1] offset0:46 offset1:136
	ds_write_b64 v196, v[2:3] offset:20880
	s_waitcnt lgkmcnt(0)
	s_barrier
	ds_read2_b64 v[0:3], v196 offset1:90
	v_accvgpr_read_b32 v6, a26
	v_accvgpr_read_b32 v7, a27
	v_mov_b32_e32 v9, s1
	s_mov_b32 s0, 0xa0ce5129
	s_waitcnt lgkmcnt(0)
	v_mul_f32_e32 v4, v7, v1
	v_fmac_f32_e32 v4, v6, v0
	v_mul_f32_e32 v0, v7, v0
	v_fma_f32 v0, v6, v1, -v0
	s_mov_b32 s1, 0x3f3845c8
	v_cvt_f64_f32_e32 v[0:1], v0
	v_cvt_f64_f32_e32 v[4:5], v4
	v_mul_f64 v[0:1], v[0:1], s[0:1]
	v_accvgpr_read_b32 v6, a64
	v_mul_f64 v[4:5], v[4:5], s[0:1]
	v_cvt_f32_f64_e32 v11, v[0:1]
	v_mad_u64_u32 v[0:1], s[2:3], s4, v6, 0
	v_cvt_f32_f64_e32 v10, v[4:5]
	v_mov_b32_e32 v4, v1
	v_accvgpr_read_b32 v14, a0
	v_accvgpr_read_b32 v15, a2
	v_mad_u64_u32 v[12:13], s[2:3], s5, v6, v[4:5]
	ds_read2_b64 v[4:7], v175 offset0:132 offset1:222
	v_mov_b32_e32 v1, v12
	v_lshl_add_u64 v[8:9], v[14:15], 3, v[8:9]
	v_lshl_add_u64 v[0:1], v[0:1], 3, v[8:9]
	global_store_dwordx2 v[0:1], v[10:11], off
	v_accvgpr_read_b32 v10, a62
	v_accvgpr_read_b32 v11, a63
	s_waitcnt lgkmcnt(0)
	v_mul_f32_e32 v8, v11, v5
	v_fmac_f32_e32 v8, v10, v4
	v_cvt_f64_f32_e32 v[8:9], v8
	v_mul_f32_e32 v4, v11, v4
	v_mul_f64 v[8:9], v[8:9], s[0:1]
	v_fma_f32 v4, v10, v5, -v4
	v_mov_b32_e32 v14, 0x1c20
	v_cvt_f32_f64_e32 v12, v[8:9]
	v_cvt_f64_f32_e32 v[4:5], v4
	ds_read2_b64 v[8:11], v163 offset0:8 offset1:98
	v_mad_u64_u32 v[0:1], s[2:3], s4, v14, v[0:1]
	v_mul_f64 v[4:5], v[4:5], s[0:1]
	s_mul_i32 s2, s5, 0x1c20
	v_cvt_f32_f64_e32 v13, v[4:5]
	v_add_u32_e32 v1, s2, v1
	global_store_dwordx2 v[0:1], v[12:13], off
	v_accvgpr_read_b32 v12, a60
	v_accvgpr_read_b32 v13, a61
	s_waitcnt lgkmcnt(0)
	v_mul_f32_e32 v4, v13, v9
	v_fmac_f32_e32 v4, v12, v8
	v_cvt_f64_f32_e32 v[4:5], v4
	v_mul_f64 v[4:5], v[4:5], s[0:1]
	v_cvt_f32_f64_e32 v4, v[4:5]
	v_mul_f32_e32 v5, v13, v8
	v_fma_f32 v5, v12, v9, -v5
	v_cvt_f64_f32_e32 v[8:9], v5
	v_mul_f64 v[8:9], v[8:9], s[0:1]
	v_cvt_f32_f64_e32 v5, v[8:9]
	v_mad_u64_u32 v[0:1], s[6:7], s4, v14, v[0:1]
	v_accvgpr_read_b32 v8, a58
	v_add_u32_e32 v1, s2, v1
	v_accvgpr_read_b32 v9, a59
	global_store_dwordx2 v[0:1], v[4:5], off
	v_mul_f32_e32 v4, v9, v3
	v_fmac_f32_e32 v4, v8, v2
	v_mul_f32_e32 v2, v9, v2
	v_fma_f32 v2, v8, v3, -v2
	v_cvt_f64_f32_e32 v[4:5], v4
	v_cvt_f64_f32_e32 v[2:3], v2
	v_mov_b32_e32 v12, 0xffffca90
	s_mul_i32 s3, s5, 0xffffca90
	v_mul_f64 v[4:5], v[4:5], s[0:1]
	v_mul_f64 v[2:3], v[2:3], s[0:1]
	v_mad_u64_u32 v[0:1], s[6:7], s4, v12, v[0:1]
	s_sub_i32 s3, s3, s4
	v_cvt_f32_f64_e32 v4, v[4:5]
	v_cvt_f32_f64_e32 v5, v[2:3]
	v_add_u32_e32 v1, s3, v1
	global_store_dwordx2 v[0:1], v[4:5], off
	v_accvgpr_read_b32 v4, a56
	v_accvgpr_read_b32 v5, a57
	v_mul_f32_e32 v2, v5, v7
	v_fmac_f32_e32 v2, v4, v6
	v_cvt_f64_f32_e32 v[2:3], v2
	v_mul_f64 v[2:3], v[2:3], s[0:1]
	v_cvt_f32_f64_e32 v2, v[2:3]
	v_mul_f32_e32 v3, v5, v6
	v_fma_f32 v3, v4, v7, -v3
	v_cvt_f64_f32_e32 v[4:5], v3
	v_mov_b32_e32 v14, 0x1c20
	v_mul_f64 v[4:5], v[4:5], s[0:1]
	v_cvt_f32_f64_e32 v3, v[4:5]
	v_mad_u64_u32 v[4:5], s[6:7], s4, v14, v[0:1]
	v_add_u32_e32 v5, s2, v5
	global_store_dwordx2 v[4:5], v[2:3], off
	v_accvgpr_read_b32 v2, a54
	v_accvgpr_read_b32 v3, a55
	v_mul_f32_e32 v0, v3, v11
	v_fmac_f32_e32 v0, v2, v10
	v_cvt_f64_f32_e32 v[0:1], v0
	v_mul_f64 v[0:1], v[0:1], s[0:1]
	v_cvt_f32_f64_e32 v6, v[0:1]
	v_mul_f32_e32 v0, v3, v10
	v_fma_f32 v0, v2, v11, -v0
	v_cvt_f64_f32_e32 v[0:1], v0
	v_mul_f64 v[0:1], v[0:1], s[0:1]
	v_cvt_f32_f64_e32 v7, v[0:1]
	ds_read2_b64 v[0:3], v167 offset0:52 offset1:142
	v_mad_u64_u32 v[8:9], s[6:7], s4, v14, v[4:5]
	v_add_u32_e32 v9, s2, v9
	global_store_dwordx2 v[8:9], v[6:7], off
	v_accvgpr_read_b32 v6, a52
	v_accvgpr_read_b32 v7, a53
	s_waitcnt lgkmcnt(0)
	v_mul_f32_e32 v4, v7, v1
	v_fmac_f32_e32 v4, v6, v0
	v_mul_f32_e32 v0, v7, v0
	v_cvt_f64_f32_e32 v[4:5], v4
	v_fma_f32 v0, v6, v1, -v0
	v_mul_f64 v[4:5], v[4:5], s[0:1]
	v_cvt_f64_f32_e32 v[0:1], v0
	v_cvt_f32_f64_e32 v10, v[4:5]
	v_mul_f64 v[0:1], v[0:1], s[0:1]
	ds_read2_b64 v[4:7], v159 offset0:56 offset1:146
	v_cvt_f32_f64_e32 v11, v[0:1]
	v_mad_u64_u32 v[0:1], s[6:7], s4, v12, v[8:9]
	v_add_u32_e32 v1, s3, v1
	global_store_dwordx2 v[0:1], v[10:11], off
	v_accvgpr_read_b32 v10, a50
	v_accvgpr_read_b32 v11, a51
	s_waitcnt lgkmcnt(0)
	v_mul_f32_e32 v8, v11, v5
	v_fmac_f32_e32 v8, v10, v4
	v_cvt_f64_f32_e32 v[8:9], v8
	v_mul_f32_e32 v4, v11, v4
	v_mul_f64 v[8:9], v[8:9], s[0:1]
	v_fma_f32 v4, v10, v5, -v4
	v_cvt_f32_f64_e32 v12, v[8:9]
	v_cvt_f64_f32_e32 v[4:5], v4
	ds_read2_b64 v[8:11], v155 offset0:60 offset1:150
	v_mul_f64 v[4:5], v[4:5], s[0:1]
	v_mad_u64_u32 v[0:1], s[6:7], s4, v14, v[0:1]
	v_cvt_f32_f64_e32 v13, v[4:5]
	v_add_u32_e32 v1, s2, v1
	global_store_dwordx2 v[0:1], v[12:13], off
	v_accvgpr_read_b32 v12, a48
	v_accvgpr_read_b32 v13, a49
	s_waitcnt lgkmcnt(0)
	v_mul_f32_e32 v4, v13, v9
	v_fmac_f32_e32 v4, v12, v8
	v_cvt_f64_f32_e32 v[4:5], v4
	v_mul_f64 v[4:5], v[4:5], s[0:1]
	v_cvt_f32_f64_e32 v4, v[4:5]
	v_mul_f32_e32 v5, v13, v8
	v_fma_f32 v5, v12, v9, -v5
	v_cvt_f64_f32_e32 v[8:9], v5
	v_mul_f64 v[8:9], v[8:9], s[0:1]
	v_cvt_f32_f64_e32 v5, v[8:9]
	v_mad_u64_u32 v[0:1], s[6:7], s4, v14, v[0:1]
	v_accvgpr_read_b32 v8, a46
	v_add_u32_e32 v1, s2, v1
	v_accvgpr_read_b32 v9, a47
	global_store_dwordx2 v[0:1], v[4:5], off
	v_mul_f32_e32 v4, v9, v3
	v_fmac_f32_e32 v4, v8, v2
	v_mul_f32_e32 v2, v9, v2
	v_fma_f32 v2, v8, v3, -v2
	v_cvt_f64_f32_e32 v[4:5], v4
	v_cvt_f64_f32_e32 v[2:3], v2
	v_mov_b32_e32 v12, 0xffffca90
	v_mul_f64 v[4:5], v[4:5], s[0:1]
	v_mul_f64 v[2:3], v[2:3], s[0:1]
	v_mad_u64_u32 v[0:1], s[6:7], s4, v12, v[0:1]
	v_cvt_f32_f64_e32 v4, v[4:5]
	v_cvt_f32_f64_e32 v5, v[2:3]
	v_add_u32_e32 v1, s3, v1
	global_store_dwordx2 v[0:1], v[4:5], off
	v_accvgpr_read_b32 v4, a42
	v_accvgpr_read_b32 v5, a43
	v_mul_f32_e32 v2, v5, v7
	v_fmac_f32_e32 v2, v4, v6
	v_cvt_f64_f32_e32 v[2:3], v2
	v_mul_f64 v[2:3], v[2:3], s[0:1]
	v_cvt_f32_f64_e32 v2, v[2:3]
	v_mul_f32_e32 v3, v5, v6
	v_fma_f32 v3, v4, v7, -v3
	v_cvt_f64_f32_e32 v[4:5], v3
	v_mul_f64 v[4:5], v[4:5], s[0:1]
	v_cvt_f32_f64_e32 v3, v[4:5]
	v_mad_u64_u32 v[4:5], s[6:7], s4, v14, v[0:1]
	v_add_u32_e32 v5, s2, v5
	global_store_dwordx2 v[4:5], v[2:3], off
	v_accvgpr_read_b32 v2, a38
	v_accvgpr_read_b32 v3, a39
	v_mul_f32_e32 v0, v3, v11
	v_fmac_f32_e32 v0, v2, v10
	v_cvt_f64_f32_e32 v[0:1], v0
	v_mul_f64 v[0:1], v[0:1], s[0:1]
	v_cvt_f32_f64_e32 v6, v[0:1]
	v_mul_f32_e32 v0, v3, v10
	v_fma_f32 v0, v2, v11, -v0
	v_cvt_f64_f32_e32 v[0:1], v0
	v_mul_f64 v[0:1], v[0:1], s[0:1]
	v_cvt_f32_f64_e32 v7, v[0:1]
	ds_read2_b64 v[0:3], v87 offset0:104 offset1:194
	v_mad_u64_u32 v[8:9], s[6:7], s4, v14, v[4:5]
	v_add_u32_e32 v9, s2, v9
	global_store_dwordx2 v[8:9], v[6:7], off
	v_accvgpr_read_b32 v6, a34
	v_accvgpr_read_b32 v7, a35
	s_waitcnt lgkmcnt(0)
	v_mul_f32_e32 v4, v7, v1
	v_fmac_f32_e32 v4, v6, v0
	v_mul_f32_e32 v0, v7, v0
	v_cvt_f64_f32_e32 v[4:5], v4
	v_fma_f32 v0, v6, v1, -v0
	v_mul_f64 v[4:5], v[4:5], s[0:1]
	v_cvt_f64_f32_e32 v[0:1], v0
	v_cvt_f32_f64_e32 v10, v[4:5]
	v_mul_f64 v[0:1], v[0:1], s[0:1]
	ds_read2_b64 v[4:7], v46 offset0:108 offset1:198
	v_cvt_f32_f64_e32 v11, v[0:1]
	v_mad_u64_u32 v[0:1], s[6:7], s4, v12, v[8:9]
	v_add_u32_e32 v1, s3, v1
	global_store_dwordx2 v[0:1], v[10:11], off
	v_accvgpr_read_b32 v10, a30
	v_accvgpr_read_b32 v11, a31
	s_waitcnt lgkmcnt(0)
	v_mul_f32_e32 v8, v11, v5
	v_fmac_f32_e32 v8, v10, v4
	v_cvt_f64_f32_e32 v[8:9], v8
	v_mul_f32_e32 v4, v11, v4
	v_mul_f64 v[8:9], v[8:9], s[0:1]
	v_fma_f32 v4, v10, v5, -v4
	v_cvt_f32_f64_e32 v12, v[8:9]
	v_cvt_f64_f32_e32 v[4:5], v4
	ds_read2_b64 v[8:11], v151 offset0:112 offset1:202
	v_mul_f64 v[4:5], v[4:5], s[0:1]
	v_mad_u64_u32 v[0:1], s[6:7], s4, v14, v[0:1]
	v_cvt_f32_f64_e32 v13, v[4:5]
	v_add_u32_e32 v1, s2, v1
	global_store_dwordx2 v[0:1], v[12:13], off
	v_accvgpr_read_b32 v12, a44
	v_accvgpr_read_b32 v13, a45
	s_waitcnt lgkmcnt(0)
	v_mul_f32_e32 v4, v13, v9
	v_fmac_f32_e32 v4, v12, v8
	v_cvt_f64_f32_e32 v[4:5], v4
	v_mul_f64 v[4:5], v[4:5], s[0:1]
	v_cvt_f32_f64_e32 v4, v[4:5]
	v_mul_f32_e32 v5, v13, v8
	v_fma_f32 v5, v12, v9, -v5
	v_cvt_f64_f32_e32 v[8:9], v5
	v_mul_f64 v[8:9], v[8:9], s[0:1]
	v_cvt_f32_f64_e32 v5, v[8:9]
	v_mad_u64_u32 v[0:1], s[6:7], s4, v14, v[0:1]
	v_accvgpr_read_b32 v8, a40
	v_add_u32_e32 v1, s2, v1
	v_accvgpr_read_b32 v9, a41
	global_store_dwordx2 v[0:1], v[4:5], off
	v_mul_f32_e32 v4, v9, v3
	v_fmac_f32_e32 v4, v8, v2
	v_mul_f32_e32 v2, v9, v2
	v_fma_f32 v2, v8, v3, -v2
	v_mov_b32_e32 v15, 0xffffca90
	v_cvt_f64_f32_e32 v[4:5], v4
	v_cvt_f64_f32_e32 v[2:3], v2
	v_mul_f64 v[4:5], v[4:5], s[0:1]
	v_mul_f64 v[2:3], v[2:3], s[0:1]
	v_mad_u64_u32 v[0:1], s[6:7], s4, v15, v[0:1]
	v_cvt_f32_f64_e32 v4, v[4:5]
	v_cvt_f32_f64_e32 v5, v[2:3]
	v_add_u32_e32 v1, s3, v1
	global_store_dwordx2 v[0:1], v[4:5], off
	v_accvgpr_read_b32 v4, a36
	v_accvgpr_read_b32 v5, a37
	v_mul_f32_e32 v2, v5, v7
	v_fmac_f32_e32 v2, v4, v6
	v_cvt_f64_f32_e32 v[2:3], v2
	v_mul_f64 v[2:3], v[2:3], s[0:1]
	v_cvt_f32_f64_e32 v2, v[2:3]
	v_mul_f32_e32 v3, v5, v6
	v_fma_f32 v3, v4, v7, -v3
	v_cvt_f64_f32_e32 v[4:5], v3
	v_mul_f64 v[4:5], v[4:5], s[0:1]
	v_cvt_f32_f64_e32 v3, v[4:5]
	v_mad_u64_u32 v[4:5], s[6:7], s4, v14, v[0:1]
	v_add_u32_e32 v5, s2, v5
	global_store_dwordx2 v[4:5], v[2:3], off
	v_accvgpr_read_b32 v2, a32
	v_accvgpr_read_b32 v3, a33
	v_mul_f32_e32 v0, v3, v11
	v_fmac_f32_e32 v0, v2, v10
	v_cvt_f64_f32_e32 v[0:1], v0
	v_mul_f64 v[0:1], v[0:1], s[0:1]
	v_cvt_f32_f64_e32 v6, v[0:1]
	v_mul_f32_e32 v0, v3, v10
	v_fma_f32 v0, v2, v11, -v0
	v_cvt_f64_f32_e32 v[0:1], v0
	v_mul_f64 v[0:1], v[0:1], s[0:1]
	v_cvt_f32_f64_e32 v7, v[0:1]
	ds_read2_b64 v[0:3], v139 offset0:28 offset1:118
	v_mad_u64_u32 v[8:9], s[6:7], s4, v14, v[4:5]
	v_add_u32_e32 v9, s2, v9
	global_store_dwordx2 v[8:9], v[6:7], off
	v_accvgpr_read_b32 v6, a28
	v_accvgpr_read_b32 v7, a29
	s_waitcnt lgkmcnt(0)
	v_mul_f32_e32 v4, v7, v1
	v_fmac_f32_e32 v4, v6, v0
	v_mul_f32_e32 v0, v7, v0
	v_cvt_f64_f32_e32 v[4:5], v4
	v_fma_f32 v0, v6, v1, -v0
	v_mul_f64 v[4:5], v[4:5], s[0:1]
	v_cvt_f64_f32_e32 v[0:1], v0
	v_cvt_f32_f64_e32 v10, v[4:5]
	v_mul_f64 v[0:1], v[0:1], s[0:1]
	ds_read2_b64 v[4:7], v123 offset0:160 offset1:250
	v_cvt_f32_f64_e32 v11, v[0:1]
	v_mad_u64_u32 v[0:1], s[6:7], s4, v15, v[8:9]
	v_add_u32_e32 v1, s3, v1
	global_store_dwordx2 v[0:1], v[10:11], off
	v_accvgpr_read_b32 v10, a24
	v_accvgpr_read_b32 v11, a25
	s_waitcnt lgkmcnt(0)
	v_mul_f32_e32 v8, v11, v5
	v_fmac_f32_e32 v8, v10, v4
	v_cvt_f64_f32_e32 v[8:9], v8
	v_mul_f32_e32 v4, v11, v4
	v_mul_f64 v[8:9], v[8:9], s[0:1]
	v_fma_f32 v4, v10, v5, -v4
	v_cvt_f32_f64_e32 v12, v[8:9]
	v_cvt_f64_f32_e32 v[4:5], v4
	ds_read2_b64 v[8:11], v135 offset0:36 offset1:126
	v_mul_f64 v[4:5], v[4:5], s[0:1]
	v_mad_u64_u32 v[0:1], s[6:7], s4, v14, v[0:1]
	v_cvt_f32_f64_e32 v13, v[4:5]
	v_add_u32_e32 v1, s2, v1
	global_store_dwordx2 v[0:1], v[12:13], off
	v_accvgpr_read_b32 v12, a22
	v_accvgpr_read_b32 v13, a23
	s_waitcnt lgkmcnt(0)
	v_mul_f32_e32 v4, v13, v9
	v_fmac_f32_e32 v4, v12, v8
	v_cvt_f64_f32_e32 v[4:5], v4
	v_mul_f64 v[4:5], v[4:5], s[0:1]
	v_cvt_f32_f64_e32 v4, v[4:5]
	v_mul_f32_e32 v5, v13, v8
	v_fma_f32 v5, v12, v9, -v5
	v_cvt_f64_f32_e32 v[8:9], v5
	v_mul_f64 v[8:9], v[8:9], s[0:1]
	v_cvt_f32_f64_e32 v5, v[8:9]
	v_mad_u64_u32 v[0:1], s[6:7], s4, v14, v[0:1]
	v_accvgpr_read_b32 v8, a20
	v_add_u32_e32 v1, s2, v1
	v_accvgpr_read_b32 v9, a21
	global_store_dwordx2 v[0:1], v[4:5], off
	v_mul_f32_e32 v4, v9, v3
	v_fmac_f32_e32 v4, v8, v2
	v_mul_f32_e32 v2, v9, v2
	v_fma_f32 v2, v8, v3, -v2
	v_cvt_f64_f32_e32 v[4:5], v4
	v_cvt_f64_f32_e32 v[2:3], v2
	v_mov_b32_e32 v12, 0xffffca90
	v_mul_f64 v[4:5], v[4:5], s[0:1]
	v_mul_f64 v[2:3], v[2:3], s[0:1]
	v_mad_u64_u32 v[0:1], s[6:7], s4, v12, v[0:1]
	v_cvt_f32_f64_e32 v4, v[4:5]
	v_cvt_f32_f64_e32 v5, v[2:3]
	v_add_u32_e32 v1, s3, v1
	global_store_dwordx2 v[0:1], v[4:5], off
	v_accvgpr_read_b32 v4, a18
	v_accvgpr_read_b32 v5, a19
	v_mul_f32_e32 v2, v5, v7
	v_fmac_f32_e32 v2, v4, v6
	v_cvt_f64_f32_e32 v[2:3], v2
	v_mul_f64 v[2:3], v[2:3], s[0:1]
	v_cvt_f32_f64_e32 v2, v[2:3]
	v_mul_f32_e32 v3, v5, v6
	v_fma_f32 v3, v4, v7, -v3
	v_cvt_f64_f32_e32 v[4:5], v3
	v_mul_f64 v[4:5], v[4:5], s[0:1]
	v_cvt_f32_f64_e32 v3, v[4:5]
	v_mad_u64_u32 v[4:5], s[6:7], s4, v14, v[0:1]
	v_add_u32_e32 v5, s2, v5
	global_store_dwordx2 v[4:5], v[2:3], off
	v_accvgpr_read_b32 v2, a16
	v_accvgpr_read_b32 v3, a17
	v_mul_f32_e32 v0, v3, v11
	v_fmac_f32_e32 v0, v2, v10
	v_cvt_f64_f32_e32 v[0:1], v0
	v_mul_f64 v[0:1], v[0:1], s[0:1]
	v_cvt_f32_f64_e32 v6, v[0:1]
	v_mul_f32_e32 v0, v3, v10
	v_fma_f32 v0, v2, v11, -v0
	v_cvt_f64_f32_e32 v[0:1], v0
	v_mul_f64 v[0:1], v[0:1], s[0:1]
	v_cvt_f32_f64_e32 v7, v[0:1]
	ds_read2_b64 v[0:3], v111 offset0:80 offset1:170
	v_mad_u64_u32 v[8:9], s[6:7], s4, v14, v[4:5]
	v_add_u32_e32 v9, s2, v9
	global_store_dwordx2 v[8:9], v[6:7], off
	v_accvgpr_read_b32 v6, a14
	v_accvgpr_read_b32 v7, a15
	s_waitcnt lgkmcnt(0)
	v_mul_f32_e32 v4, v7, v1
	v_fmac_f32_e32 v4, v6, v0
	v_mul_f32_e32 v0, v7, v0
	v_cvt_f64_f32_e32 v[4:5], v4
	v_fma_f32 v0, v6, v1, -v0
	v_mul_f64 v[4:5], v[4:5], s[0:1]
	v_cvt_f64_f32_e32 v[0:1], v0
	v_cvt_f32_f64_e32 v10, v[4:5]
	v_mul_f64 v[0:1], v[0:1], s[0:1]
	ds_read2_b64 v[4:7], v147 offset0:84 offset1:174
	v_cvt_f32_f64_e32 v11, v[0:1]
	v_mad_u64_u32 v[0:1], s[6:7], s4, v12, v[8:9]
	v_add_u32_e32 v1, s3, v1
	global_store_dwordx2 v[0:1], v[10:11], off
	v_accvgpr_read_b32 v10, a12
	v_accvgpr_read_b32 v11, a13
	s_waitcnt lgkmcnt(0)
	v_mul_f32_e32 v8, v11, v5
	v_fmac_f32_e32 v8, v10, v4
	v_cvt_f64_f32_e32 v[8:9], v8
	v_mul_f64 v[8:9], v[8:9], s[0:1]
	v_mul_f32_e32 v4, v11, v4
	v_cvt_f32_f64_e32 v12, v[8:9]
	v_fma_f32 v4, v10, v5, -v4
	ds_read2_b64 v[8:11], v143 offset0:88 offset1:178
	v_cvt_f64_f32_e32 v[4:5], v4
	v_mul_f64 v[4:5], v[4:5], s[0:1]
	v_mad_u64_u32 v[0:1], s[6:7], s4, v14, v[0:1]
	v_cvt_f32_f64_e32 v13, v[4:5]
	v_add_u32_e32 v1, s2, v1
	global_store_dwordx2 v[0:1], v[12:13], off
	v_accvgpr_read_b32 v13, a11
	v_accvgpr_read_b32 v12, a10
	s_waitcnt lgkmcnt(0)
	v_mul_f32_e32 v4, v13, v9
	v_fmac_f32_e32 v4, v12, v8
	v_cvt_f64_f32_e32 v[4:5], v4
	v_mul_f64 v[4:5], v[4:5], s[0:1]
	v_cvt_f32_f64_e32 v4, v[4:5]
	v_mul_f32_e32 v5, v13, v8
	v_fma_f32 v5, v12, v9, -v5
	v_cvt_f64_f32_e32 v[8:9], v5
	v_mul_f64 v[8:9], v[8:9], s[0:1]
	v_cvt_f32_f64_e32 v5, v[8:9]
	v_mad_u64_u32 v[0:1], s[6:7], s4, v14, v[0:1]
	v_accvgpr_read_b32 v8, a8
	v_add_u32_e32 v1, s2, v1
	v_accvgpr_read_b32 v9, a9
	global_store_dwordx2 v[0:1], v[4:5], off
	v_mul_f32_e32 v4, v9, v3
	v_fmac_f32_e32 v4, v8, v2
	v_mul_f32_e32 v2, v9, v2
	v_fma_f32 v2, v8, v3, -v2
	v_mov_b32_e32 v15, 0xffffca90
	v_cvt_f64_f32_e32 v[4:5], v4
	v_cvt_f64_f32_e32 v[2:3], v2
	v_mul_f64 v[4:5], v[4:5], s[0:1]
	v_mul_f64 v[2:3], v[2:3], s[0:1]
	v_mad_u64_u32 v[0:1], s[6:7], s4, v15, v[0:1]
	v_cvt_f32_f64_e32 v4, v[4:5]
	v_cvt_f32_f64_e32 v5, v[2:3]
	v_add_u32_e32 v1, s3, v1
	global_store_dwordx2 v[0:1], v[4:5], off
	v_accvgpr_read_b32 v4, a6
	v_accvgpr_read_b32 v5, a7
	v_mul_f32_e32 v2, v5, v7
	v_fmac_f32_e32 v2, v4, v6
	v_cvt_f64_f32_e32 v[2:3], v2
	v_mul_f64 v[2:3], v[2:3], s[0:1]
	v_cvt_f32_f64_e32 v2, v[2:3]
	v_mul_f32_e32 v3, v5, v6
	v_fma_f32 v3, v4, v7, -v3
	v_cvt_f64_f32_e32 v[4:5], v3
	v_mul_f64 v[4:5], v[4:5], s[0:1]
	v_cvt_f32_f64_e32 v3, v[4:5]
	v_mad_u64_u32 v[0:1], s[6:7], s4, v14, v[0:1]
	v_accvgpr_read_b32 v4, a4
	v_add_u32_e32 v1, s2, v1
	v_accvgpr_read_b32 v5, a5
	global_store_dwordx2 v[0:1], v[2:3], off
	v_mul_f32_e32 v2, v5, v11
	v_fmac_f32_e32 v2, v4, v10
	v_cvt_f64_f32_e32 v[2:3], v2
	v_mul_f64 v[2:3], v[2:3], s[0:1]
	v_cvt_f32_f64_e32 v2, v[2:3]
	v_mul_f32_e32 v3, v5, v10
	v_fma_f32 v3, v4, v11, -v3
	v_cvt_f64_f32_e32 v[4:5], v3
	v_mul_f64 v[4:5], v[4:5], s[0:1]
	v_mad_u64_u32 v[0:1], s[0:1], s4, v14, v[0:1]
	v_cvt_f32_f64_e32 v3, v[4:5]
	v_add_u32_e32 v1, s2, v1
	global_store_dwordx2 v[0:1], v[2:3], off
.LBB0_2:
	s_endpgm
	.section	.rodata,"a",@progbits
	.p2align	6, 0x0
	.amdhsa_kernel bluestein_single_fwd_len2700_dim1_sp_op_CI_CI
		.amdhsa_group_segment_fixed_size 21600
		.amdhsa_private_segment_fixed_size 0
		.amdhsa_kernarg_size 104
		.amdhsa_user_sgpr_count 2
		.amdhsa_user_sgpr_dispatch_ptr 0
		.amdhsa_user_sgpr_queue_ptr 0
		.amdhsa_user_sgpr_kernarg_segment_ptr 1
		.amdhsa_user_sgpr_dispatch_id 0
		.amdhsa_user_sgpr_kernarg_preload_length 0
		.amdhsa_user_sgpr_kernarg_preload_offset 0
		.amdhsa_user_sgpr_private_segment_size 0
		.amdhsa_uses_dynamic_stack 0
		.amdhsa_enable_private_segment 0
		.amdhsa_system_sgpr_workgroup_id_x 1
		.amdhsa_system_sgpr_workgroup_id_y 0
		.amdhsa_system_sgpr_workgroup_id_z 0
		.amdhsa_system_sgpr_workgroup_info 0
		.amdhsa_system_vgpr_workitem_id 0
		.amdhsa_next_free_vgpr 450
		.amdhsa_next_free_sgpr 22
		.amdhsa_accum_offset 256
		.amdhsa_reserve_vcc 1
		.amdhsa_float_round_mode_32 0
		.amdhsa_float_round_mode_16_64 0
		.amdhsa_float_denorm_mode_32 3
		.amdhsa_float_denorm_mode_16_64 3
		.amdhsa_dx10_clamp 1
		.amdhsa_ieee_mode 1
		.amdhsa_fp16_overflow 0
		.amdhsa_tg_split 0
		.amdhsa_exception_fp_ieee_invalid_op 0
		.amdhsa_exception_fp_denorm_src 0
		.amdhsa_exception_fp_ieee_div_zero 0
		.amdhsa_exception_fp_ieee_overflow 0
		.amdhsa_exception_fp_ieee_underflow 0
		.amdhsa_exception_fp_ieee_inexact 0
		.amdhsa_exception_int_div_zero 0
	.end_amdhsa_kernel
	.text
.Lfunc_end0:
	.size	bluestein_single_fwd_len2700_dim1_sp_op_CI_CI, .Lfunc_end0-bluestein_single_fwd_len2700_dim1_sp_op_CI_CI
                                        ; -- End function
	.section	.AMDGPU.csdata,"",@progbits
; Kernel info:
; codeLenInByte = 32952
; NumSgprs: 28
; NumVgprs: 256
; NumAgprs: 194
; TotalNumVgprs: 450
; ScratchSize: 0
; MemoryBound: 0
; FloatMode: 240
; IeeeMode: 1
; LDSByteSize: 21600 bytes/workgroup (compile time only)
; SGPRBlocks: 3
; VGPRBlocks: 56
; NumSGPRsForWavesPerEU: 28
; NumVGPRsForWavesPerEU: 450
; AccumOffset: 256
; Occupancy: 1
; WaveLimiterHint : 1
; COMPUTE_PGM_RSRC2:SCRATCH_EN: 0
; COMPUTE_PGM_RSRC2:USER_SGPR: 2
; COMPUTE_PGM_RSRC2:TRAP_HANDLER: 0
; COMPUTE_PGM_RSRC2:TGID_X_EN: 1
; COMPUTE_PGM_RSRC2:TGID_Y_EN: 0
; COMPUTE_PGM_RSRC2:TGID_Z_EN: 0
; COMPUTE_PGM_RSRC2:TIDIG_COMP_CNT: 0
; COMPUTE_PGM_RSRC3_GFX90A:ACCUM_OFFSET: 63
; COMPUTE_PGM_RSRC3_GFX90A:TG_SPLIT: 0
	.text
	.p2alignl 6, 3212836864
	.fill 256, 4, 3212836864
	.type	__hip_cuid_5aeb5f5cd413e405,@object ; @__hip_cuid_5aeb5f5cd413e405
	.section	.bss,"aw",@nobits
	.globl	__hip_cuid_5aeb5f5cd413e405
__hip_cuid_5aeb5f5cd413e405:
	.byte	0                               ; 0x0
	.size	__hip_cuid_5aeb5f5cd413e405, 1

	.ident	"AMD clang version 19.0.0git (https://github.com/RadeonOpenCompute/llvm-project roc-6.4.0 25133 c7fe45cf4b819c5991fe208aaa96edf142730f1d)"
	.section	".note.GNU-stack","",@progbits
	.addrsig
	.addrsig_sym __hip_cuid_5aeb5f5cd413e405
	.amdgpu_metadata
---
amdhsa.kernels:
  - .agpr_count:     194
    .args:
      - .actual_access:  read_only
        .address_space:  global
        .offset:         0
        .size:           8
        .value_kind:     global_buffer
      - .actual_access:  read_only
        .address_space:  global
        .offset:         8
        .size:           8
        .value_kind:     global_buffer
      - .actual_access:  read_only
        .address_space:  global
        .offset:         16
        .size:           8
        .value_kind:     global_buffer
      - .actual_access:  read_only
        .address_space:  global
        .offset:         24
        .size:           8
        .value_kind:     global_buffer
      - .actual_access:  read_only
        .address_space:  global
        .offset:         32
        .size:           8
        .value_kind:     global_buffer
      - .offset:         40
        .size:           8
        .value_kind:     by_value
      - .address_space:  global
        .offset:         48
        .size:           8
        .value_kind:     global_buffer
      - .address_space:  global
        .offset:         56
        .size:           8
        .value_kind:     global_buffer
      - .address_space:  global
        .offset:         64
        .size:           8
        .value_kind:     global_buffer
      - .address_space:  global
        .offset:         72
        .size:           8
        .value_kind:     global_buffer
      - .offset:         80
        .size:           4
        .value_kind:     by_value
      - .address_space:  global
        .offset:         88
        .size:           8
        .value_kind:     global_buffer
      - .address_space:  global
        .offset:         96
        .size:           8
        .value_kind:     global_buffer
    .group_segment_fixed_size: 21600
    .kernarg_segment_align: 8
    .kernarg_segment_size: 104
    .language:       OpenCL C
    .language_version:
      - 2
      - 0
    .max_flat_workgroup_size: 90
    .name:           bluestein_single_fwd_len2700_dim1_sp_op_CI_CI
    .private_segment_fixed_size: 0
    .sgpr_count:     28
    .sgpr_spill_count: 0
    .symbol:         bluestein_single_fwd_len2700_dim1_sp_op_CI_CI.kd
    .uniform_work_group_size: 1
    .uses_dynamic_stack: false
    .vgpr_count:     450
    .vgpr_spill_count: 0
    .wavefront_size: 64
amdhsa.target:   amdgcn-amd-amdhsa--gfx950
amdhsa.version:
  - 1
  - 2
...

	.end_amdgpu_metadata
